;; amdgpu-corpus repo=ROCm/rocFFT kind=compiled arch=gfx1201 opt=O3
	.text
	.amdgcn_target "amdgcn-amd-amdhsa--gfx1201"
	.amdhsa_code_object_version 6
	.protected	bluestein_single_fwd_len3240_dim1_sp_op_CI_CI ; -- Begin function bluestein_single_fwd_len3240_dim1_sp_op_CI_CI
	.globl	bluestein_single_fwd_len3240_dim1_sp_op_CI_CI
	.p2align	8
	.type	bluestein_single_fwd_len3240_dim1_sp_op_CI_CI,@function
bluestein_single_fwd_len3240_dim1_sp_op_CI_CI: ; @bluestein_single_fwd_len3240_dim1_sp_op_CI_CI
; %bb.0:
	s_load_b128 s[12:15], s[0:1], 0x28
	v_mul_u32_u24_e32 v1, 0x25f, v0
	s_mov_b32 s2, exec_lo
	v_mov_b32_e32 v2, 0
	s_delay_alu instid0(VALU_DEP_2) | instskip(NEXT) | instid1(VALU_DEP_1)
	v_lshrrev_b32_e32 v3, 16, v1
	v_add_nc_u32_e32 v1, ttmp9, v3
	s_wait_kmcnt 0x0
	s_delay_alu instid0(VALU_DEP_1)
	v_cmpx_gt_u64_e64 s[12:13], v[1:2]
	s_cbranch_execz .LBB0_2
; %bb.1:
	s_clause 0x2
	s_load_b128 s[4:7], s[0:1], 0x0
	s_load_b128 s[8:11], s[0:1], 0x18
	s_load_b64 s[12:13], s[0:1], 0x38
	v_mul_lo_u16 v2, 0x6c, v3
	s_delay_alu instid0(VALU_DEP_1)
	v_sub_nc_u16 v176, v0, v2
	s_wait_kmcnt 0x0
	s_load_b128 s[0:3], s[10:11], 0x0
	s_load_b128 s[8:11], s[8:9], 0x0
	s_wait_kmcnt 0x0
	v_mad_co_u64_u32 v[4:5], null, s2, v1, 0
	s_delay_alu instid0(VALU_DEP_1) | instskip(NEXT) | instid1(VALU_DEP_1)
	v_mov_b32_e32 v0, v5
	v_mad_co_u64_u32 v[2:3], null, s3, v1, v[0:1]
	v_and_b32_e32 v168, 0xffff, v176
	s_movk_i32 s2, 0xbfe0
	s_mov_b32 s3, -1
	s_delay_alu instid0(VALU_DEP_2)
	v_mov_b32_e32 v5, v2
	v_mad_co_u64_u32 v[2:3], null, s10, v1, 0
	v_add_co_u32 v162, null, 0xd8, v168
	scratch_store_b64 off, v[4:5], off offset:200 ; 8-byte Folded Spill
	v_add_co_u32 v161, null, 0x1b0, v168
	v_add_co_u32 v163, null, 0x6c, v168
	v_mov_b32_e32 v0, v3
	v_add_co_u32 v160, null, 0x144, v168
	v_add_co_u32 v73, null, 0x21c, v168
	s_delay_alu instid0(VALU_DEP_3)
	v_mad_co_u64_u32 v[0:1], null, s11, v1, v[0:1]
	v_add_co_u32 v72, null, 0x288, v168
	v_add_co_u32 v71, null, 0x2f4, v168
	v_lshlrev_b32_e32 v68, 3, v168
	v_add_co_u32 v70, null, 0x360, v168
	v_mov_b32_e32 v3, v0
	v_mad_co_u64_u32 v[0:1], null, s8, v168, 0
	v_add_co_u32 v69, null, 0x3cc, v168
	v_and_b32_e32 v164, 0xff, v163
	v_and_b32_e32 v166, 0xffff, v160
	s_add_nc_u64 s[10:11], s[4:5], 0x6540
	v_and_b32_e32 v167, 0xffff, v162
	v_mad_co_u64_u32 v[4:5], null, s9, v168, v[1:2]
	v_lshlrev_b64_e32 v[2:3], 3, v[2:3]
	global_load_b64 v[5:6], v68, s[4:5]
	v_and_b32_e32 v165, 0xffff, v161
	v_mov_b32_e32 v1, v4
	v_add_co_u32 v2, vcc_lo, s14, v2
	v_add_co_ci_u32_e32 v3, vcc_lo, s15, v3, vcc_lo
	s_delay_alu instid0(VALU_DEP_3) | instskip(SKIP_3) | instid1(VALU_DEP_1)
	v_lshlrev_b64_e32 v[0:1], 3, v[0:1]
	s_mul_u64 s[14:15], s[8:9], 0x21c0
	s_wait_alu 0xfffe
	s_mul_u64 s[8:9], s[8:9], s[2:3]
	v_add_co_u32 v0, vcc_lo, v2, v0
	s_wait_alu 0xfffd
	v_add_co_ci_u32_e32 v1, vcc_lo, v3, v1, vcc_lo
	global_load_b64 v[2:3], v[0:1], off
	v_add_co_u32 v0, vcc_lo, v0, s14
	s_wait_alu 0xfffd
	v_add_co_ci_u32_e32 v1, vcc_lo, s15, v1, vcc_lo
	s_wait_loadcnt 0x1
	scratch_store_b64 off, v[5:6], off offset:232 ; 8-byte Folded Spill
	s_wait_loadcnt 0x0
	v_mul_f32_e32 v4, v3, v6
	s_delay_alu instid0(VALU_DEP_1) | instskip(SKIP_1) | instid1(VALU_DEP_1)
	v_fmac_f32_e32 v4, v2, v5
	v_mul_f32_e32 v2, v2, v6
	v_fma_f32 v5, v3, v5, -v2
	global_load_b64 v[2:3], v[0:1], off
	global_load_b64 v[7:8], v68, s[4:5] offset:8640
	v_add_co_u32 v0, vcc_lo, v0, s14
	s_wait_alu 0xfffd
	v_add_co_ci_u32_e32 v1, vcc_lo, s15, v1, vcc_lo
	s_wait_loadcnt 0x0
	v_mul_f32_e32 v6, v3, v8
	scratch_store_b64 off, v[7:8], off offset:224 ; 8-byte Folded Spill
	v_fmac_f32_e32 v6, v2, v7
	v_mul_f32_e32 v2, v2, v8
	s_delay_alu instid0(VALU_DEP_1)
	v_fma_f32 v7, v3, v7, -v2
	ds_store_b64 v68, v[6:7] offset:8640
	global_load_b64 v[2:3], v[0:1], off
	global_load_b64 v[7:8], v68, s[4:5] offset:17280
	s_wait_alu 0xfffe
	v_add_co_u32 v0, vcc_lo, v0, s8
	s_wait_alu 0xfffd
	v_add_co_ci_u32_e32 v1, vcc_lo, s9, v1, vcc_lo
	s_wait_loadcnt 0x0
	v_mul_f32_e32 v6, v3, v8
	scratch_store_b64 off, v[7:8], off offset:240 ; 8-byte Folded Spill
	v_fmac_f32_e32 v6, v2, v7
	v_mul_f32_e32 v2, v2, v8
	s_delay_alu instid0(VALU_DEP_1)
	v_fma_f32 v7, v3, v7, -v2
	ds_store_b64 v68, v[6:7] offset:17280
	global_load_b64 v[2:3], v[0:1], off
	global_load_b64 v[7:8], v68, s[4:5] offset:864
	v_add_co_u32 v0, vcc_lo, v0, s14
	s_wait_alu 0xfffd
	v_add_co_ci_u32_e32 v1, vcc_lo, s15, v1, vcc_lo
	s_wait_loadcnt 0x0
	v_mul_f32_e32 v6, v3, v8
	scratch_store_b64 off, v[7:8], off offset:216 ; 8-byte Folded Spill
	v_fmac_f32_e32 v6, v2, v7
	v_mul_f32_e32 v2, v2, v8
	s_delay_alu instid0(VALU_DEP_1)
	v_fma_f32 v7, v3, v7, -v2
	ds_store_2addr_b64 v68, v[4:5], v[6:7] offset1:108
	global_load_b64 v[2:3], v[0:1], off
	global_load_b64 v[5:6], v68, s[4:5] offset:9504
	v_add_co_u32 v0, vcc_lo, v0, s14
	s_wait_alu 0xfffd
	v_add_co_ci_u32_e32 v1, vcc_lo, s15, v1, vcc_lo
	s_wait_loadcnt 0x0
	v_mul_f32_e32 v4, v3, v6
	scratch_store_b64 off, v[5:6], off offset:208 ; 8-byte Folded Spill
	v_fmac_f32_e32 v4, v2, v5
	v_mul_f32_e32 v2, v2, v6
	s_delay_alu instid0(VALU_DEP_1)
	v_fma_f32 v5, v3, v5, -v2
	global_load_b64 v[2:3], v[0:1], off
	global_load_b64 v[7:8], v68, s[4:5] offset:18144
	v_add_co_u32 v0, vcc_lo, v0, s8
	s_wait_alu 0xfffd
	v_add_co_ci_u32_e32 v1, vcc_lo, s9, v1, vcc_lo
	s_wait_loadcnt 0x0
	v_mul_f32_e32 v6, v3, v8
	scratch_store_b64 off, v[7:8], off offset:192 ; 8-byte Folded Spill
	v_fmac_f32_e32 v6, v2, v7
	v_mul_f32_e32 v2, v2, v8
	s_delay_alu instid0(VALU_DEP_1)
	v_fma_f32 v7, v3, v7, -v2
	;; [unrolled: 12-line block ×4, first 2 shown]
	v_add_nc_u32_e32 v2, 0x2400, v68
	ds_store_2addr_b64 v2, v[4:5], v[10:11] offset0:36 offset1:144
	global_load_b64 v[2:3], v[0:1], off
	global_load_b64 v[10:11], v68, s[4:5] offset:19008
	v_add_co_u32 v0, vcc_lo, v0, s8
	s_wait_alu 0xfffd
	v_add_co_ci_u32_e32 v1, vcc_lo, s9, v1, vcc_lo
	s_wait_loadcnt 0x0
	v_mul_f32_e32 v4, v3, v11
	scratch_store_b64 off, v[10:11], off offset:168 ; 8-byte Folded Spill
	v_fmac_f32_e32 v4, v2, v10
	v_mul_f32_e32 v2, v2, v11
	s_delay_alu instid0(VALU_DEP_1)
	v_fma_f32 v5, v3, v10, -v2
	v_add_nc_u32_e32 v2, 0x4400, v68
	ds_store_2addr_b64 v2, v[6:7], v[4:5] offset0:92 offset1:200
	global_load_b64 v[2:3], v[0:1], off
	global_load_b64 v[5:6], v68, s[4:5] offset:2592
	v_add_co_u32 v0, vcc_lo, v0, s14
	s_wait_alu 0xfffd
	v_add_co_ci_u32_e32 v1, vcc_lo, s15, v1, vcc_lo
	s_wait_loadcnt 0x0
	v_mul_f32_e32 v4, v3, v6
	scratch_store_b64 off, v[5:6], off offset:160 ; 8-byte Folded Spill
	v_fmac_f32_e32 v4, v2, v5
	v_mul_f32_e32 v2, v2, v6
	s_delay_alu instid0(VALU_DEP_1)
	v_fma_f32 v5, v3, v5, -v2
	v_add_nc_u32_e32 v2, 0x400, v68
	ds_store_2addr_b64 v2, v[8:9], v[4:5] offset0:88 offset1:196
	v_mov_b32_e32 v23, v2
	global_load_b64 v[2:3], v[0:1], off
	global_load_b64 v[5:6], v68, s[4:5] offset:11232
	v_add_co_u32 v0, vcc_lo, v0, s14
	s_wait_alu 0xfffd
	v_add_co_ci_u32_e32 v1, vcc_lo, s15, v1, vcc_lo
	v_mov_b32_e32 v81, v23
	s_delay_alu instid0(VALU_DEP_1)
	v_mov_b32_e32 v116, v81
	s_wait_loadcnt 0x0
	v_mul_f32_e32 v4, v3, v6
	scratch_store_b64 off, v[5:6], off offset:152 ; 8-byte Folded Spill
	v_fmac_f32_e32 v4, v2, v5
	v_mul_f32_e32 v2, v2, v6
	s_delay_alu instid0(VALU_DEP_1)
	v_fma_f32 v5, v3, v5, -v2
	global_load_b64 v[2:3], v[0:1], off
	global_load_b64 v[7:8], v68, s[4:5] offset:19872
	v_add_co_u32 v0, vcc_lo, v0, s8
	s_wait_alu 0xfffd
	v_add_co_ci_u32_e32 v1, vcc_lo, s9, v1, vcc_lo
	s_wait_loadcnt 0x0
	v_mul_f32_e32 v6, v3, v8
	scratch_store_b64 off, v[7:8], off offset:144 ; 8-byte Folded Spill
	v_fmac_f32_e32 v6, v2, v7
	v_mul_f32_e32 v2, v2, v8
	s_delay_alu instid0(VALU_DEP_1)
	v_fma_f32 v7, v3, v7, -v2
	global_load_b64 v[2:3], v[0:1], off
	global_load_b64 v[9:10], v68, s[4:5] offset:3456
	v_add_co_u32 v0, vcc_lo, v0, s14
	s_wait_alu 0xfffd
	v_add_co_ci_u32_e32 v1, vcc_lo, s15, v1, vcc_lo
	;; [unrolled: 12-line block ×3, first 2 shown]
	s_wait_loadcnt 0x0
	v_mul_f32_e32 v10, v3, v12
	scratch_store_b64 off, v[11:12], off offset:128 ; 8-byte Folded Spill
	v_fmac_f32_e32 v10, v2, v11
	v_mul_f32_e32 v2, v2, v12
	s_delay_alu instid0(VALU_DEP_1)
	v_fma_f32 v11, v3, v11, -v2
	v_add_nc_u32_e32 v2, 0x2800, v68
	ds_store_2addr_b64 v2, v[4:5], v[10:11] offset0:124 offset1:232
	v_mov_b32_e32 v22, v2
	global_load_b64 v[2:3], v[0:1], off
	global_load_b64 v[10:11], v68, s[4:5] offset:20736
	v_add_co_u32 v0, vcc_lo, v0, s8
	s_wait_alu 0xfffd
	v_add_co_ci_u32_e32 v1, vcc_lo, s9, v1, vcc_lo
	v_mov_b32_e32 v80, v22
	s_wait_loadcnt 0x0
	s_delay_alu instid0(VALU_DEP_1) | instskip(SKIP_3) | instid1(VALU_DEP_1)
	v_dual_mov_b32 v111, v80 :: v_dual_mul_f32 v4, v3, v11
	scratch_store_b64 off, v[10:11], off offset:120 ; 8-byte Folded Spill
	v_fmac_f32_e32 v4, v2, v10
	v_mul_f32_e32 v2, v2, v11
	v_fma_f32 v5, v3, v10, -v2
	v_add_nc_u32_e32 v2, 0x4c00, v68
	ds_store_2addr_b64 v2, v[6:7], v[4:5] offset0:52 offset1:160
	global_load_b64 v[2:3], v[0:1], off
	global_load_b64 v[5:6], v68, s[4:5] offset:4320
	v_add_co_u32 v0, vcc_lo, v0, s14
	s_wait_alu 0xfffd
	v_add_co_ci_u32_e32 v1, vcc_lo, s15, v1, vcc_lo
	s_wait_loadcnt 0x0
	v_mul_f32_e32 v4, v3, v6
	scratch_store_b64 off, v[5:6], off offset:112 ; 8-byte Folded Spill
	v_fmac_f32_e32 v4, v2, v5
	v_mul_f32_e32 v2, v2, v6
	s_delay_alu instid0(VALU_DEP_1)
	v_fma_f32 v5, v3, v5, -v2
	v_add_nc_u32_e32 v2, 0xc00, v68
	ds_store_2addr_b64 v2, v[8:9], v[4:5] offset0:48 offset1:156
	v_mov_b32_e32 v20, v2
	global_load_b64 v[2:3], v[0:1], off
	global_load_b64 v[5:6], v68, s[4:5] offset:12960
	v_add_co_u32 v0, vcc_lo, v0, s14
	s_wait_alu 0xfffd
	v_add_co_ci_u32_e32 v1, vcc_lo, s15, v1, vcc_lo
	v_mov_b32_e32 v76, v20
	s_wait_loadcnt 0x0
	s_delay_alu instid0(VALU_DEP_1) | instskip(SKIP_3) | instid1(VALU_DEP_1)
	v_dual_mov_b32 v113, v76 :: v_dual_mul_f32 v4, v3, v6
	scratch_store_b64 off, v[5:6], off offset:104 ; 8-byte Folded Spill
	v_fmac_f32_e32 v4, v2, v5
	v_mul_f32_e32 v2, v2, v6
	v_fma_f32 v5, v3, v5, -v2
	global_load_b64 v[2:3], v[0:1], off
	global_load_b64 v[7:8], v68, s[4:5] offset:21600
	v_add_co_u32 v0, vcc_lo, v0, s8
	s_wait_alu 0xfffd
	v_add_co_ci_u32_e32 v1, vcc_lo, s9, v1, vcc_lo
	s_wait_loadcnt 0x0
	v_mul_f32_e32 v6, v3, v8
	scratch_store_b64 off, v[7:8], off offset:96 ; 8-byte Folded Spill
	v_fmac_f32_e32 v6, v2, v7
	v_mul_f32_e32 v2, v2, v8
	s_delay_alu instid0(VALU_DEP_1)
	v_fma_f32 v7, v3, v7, -v2
	global_load_b64 v[2:3], v[0:1], off
	global_load_b64 v[9:10], v68, s[4:5] offset:5184
	v_add_co_u32 v0, vcc_lo, v0, s14
	s_wait_alu 0xfffd
	v_add_co_ci_u32_e32 v1, vcc_lo, s15, v1, vcc_lo
	s_wait_loadcnt 0x0
	v_mul_f32_e32 v8, v3, v10
	scratch_store_b64 off, v[9:10], off offset:64 ; 8-byte Folded Spill
	v_fmac_f32_e32 v8, v2, v9
	v_mul_f32_e32 v2, v2, v10
	s_delay_alu instid0(VALU_DEP_1)
	;; [unrolled: 12-line block ×3, first 2 shown]
	v_fma_f32 v11, v3, v11, -v2
	v_add_nc_u32_e32 v2, 0x3000, v68
	ds_store_2addr_b64 v2, v[4:5], v[10:11] offset0:84 offset1:192
	global_load_b64 v[2:3], v[0:1], off
	global_load_b64 v[10:11], v68, s[4:5] offset:22464
	v_add_co_u32 v0, vcc_lo, v0, s8
	s_wait_alu 0xfffd
	v_add_co_ci_u32_e32 v1, vcc_lo, s9, v1, vcc_lo
	s_wait_loadcnt 0x0
	v_mul_f32_e32 v4, v3, v11
	scratch_store_b64 off, v[10:11], off offset:48 ; 8-byte Folded Spill
	v_fmac_f32_e32 v4, v2, v10
	v_mul_f32_e32 v2, v2, v11
	s_delay_alu instid0(VALU_DEP_1)
	v_fma_f32 v5, v3, v10, -v2
	v_add_nc_u32_e32 v2, 0x5000, v68
	ds_store_2addr_b64 v2, v[6:7], v[4:5] offset0:140 offset1:248
	v_mov_b32_e32 v21, v2
	global_load_b64 v[2:3], v[0:1], off
	global_load_b64 v[5:6], v68, s[4:5] offset:6048
	v_add_co_u32 v0, vcc_lo, v0, s14
	s_wait_alu 0xfffd
	v_add_co_ci_u32_e32 v1, vcc_lo, s15, v1, vcc_lo
	v_mov_b32_e32 v66, v21
	s_delay_alu instid0(VALU_DEP_1)
	v_mov_b32_e32 v112, v66
	s_wait_loadcnt 0x0
	v_mul_f32_e32 v4, v3, v6
	scratch_store_b64 off, v[5:6], off offset:40 ; 8-byte Folded Spill
	v_fmac_f32_e32 v4, v2, v5
	v_mul_f32_e32 v2, v2, v6
	s_delay_alu instid0(VALU_DEP_1)
	v_fma_f32 v5, v3, v5, -v2
	v_add_nc_u32_e32 v2, 0x1000, v68
	ds_store_2addr_b64 v2, v[8:9], v[4:5] offset0:136 offset1:244
	v_mov_b32_e32 v24, v2
	global_load_b64 v[2:3], v[0:1], off
	global_load_b64 v[5:6], v68, s[4:5] offset:14688
	v_add_co_u32 v0, vcc_lo, v0, s14
	s_wait_alu 0xfffd
	v_add_co_ci_u32_e32 v1, vcc_lo, s15, v1, vcc_lo
	v_mov_b32_e32 v84, v24
	s_delay_alu instid0(VALU_DEP_1) | instskip(NEXT) | instid1(VALU_DEP_1)
	v_mov_b32_e32 v117, v84
	v_mov_b32_e32 v158, v117
	s_wait_loadcnt 0x0
	v_mul_f32_e32 v4, v3, v6
	scratch_store_b64 off, v[5:6], off offset:32 ; 8-byte Folded Spill
	v_fmac_f32_e32 v4, v2, v5
	v_mul_f32_e32 v2, v2, v6
	s_delay_alu instid0(VALU_DEP_1)
	v_fma_f32 v5, v3, v5, -v2
	global_load_b64 v[2:3], v[0:1], off
	global_load_b64 v[7:8], v68, s[4:5] offset:23328
	s_wait_loadcnt 0x0
	v_mul_f32_e32 v6, v3, v8
	scratch_store_b64 off, v[7:8], off offset:24 ; 8-byte Folded Spill
	v_fmac_f32_e32 v6, v2, v7
	v_mul_f32_e32 v2, v2, v8
	s_delay_alu instid0(VALU_DEP_1)
	v_fma_f32 v7, v3, v7, -v2
	v_add_co_u32 v2, vcc_lo, v0, s8
	s_wait_alu 0xfffd
	v_add_co_ci_u32_e32 v3, vcc_lo, s9, v1, vcc_lo
	global_load_b64 v[8:9], v[2:3], off
	global_load_b64 v[10:11], v68, s[4:5] offset:6912
	v_add_co_u32 v2, vcc_lo, v2, s14
	s_wait_alu 0xfffd
	v_add_co_ci_u32_e32 v3, vcc_lo, s15, v3, vcc_lo
	s_wait_loadcnt 0x0
	v_mul_f32_e32 v0, v9, v11
	v_mul_f32_e32 v1, v8, v11
	scratch_store_b64 off, v[10:11], off offset:16 ; 8-byte Folded Spill
	v_fmac_f32_e32 v0, v8, v10
	v_fma_f32 v1, v9, v10, -v1
	global_load_b64 v[8:9], v[2:3], off
	global_load_b64 v[11:12], v68, s[4:5] offset:15552
	v_add_co_u32 v2, vcc_lo, v2, s14
	s_wait_alu 0xfffd
	v_add_co_ci_u32_e32 v3, vcc_lo, s15, v3, vcc_lo
	s_wait_loadcnt 0x0
	v_mul_f32_e32 v10, v9, v12
	scratch_store_b64 off, v[11:12], off offset:8 ; 8-byte Folded Spill
	v_fmac_f32_e32 v10, v8, v11
	v_mul_f32_e32 v8, v8, v12
	s_delay_alu instid0(VALU_DEP_1)
	v_fma_f32 v11, v9, v11, -v8
	v_add_nc_u32_e32 v8, 0x3800, v68
	ds_store_2addr_b64 v8, v[4:5], v[10:11] offset0:44 offset1:152
	global_load_b64 v[4:5], v[2:3], off
	global_load_b64 v[9:10], v68, s[4:5] offset:24192
	v_add_co_u32 v2, vcc_lo, v2, s8
	s_wait_alu 0xfffd
	v_add_co_ci_u32_e32 v3, vcc_lo, s9, v3, vcc_lo
	s_wait_loadcnt 0x0
	v_mul_f32_e32 v8, v5, v10
	scratch_store_b64 off, v[9:10], off     ; 8-byte Folded Spill
	v_fmac_f32_e32 v8, v4, v9
	v_mul_f32_e32 v4, v4, v10
	s_delay_alu instid0(VALU_DEP_1)
	v_fma_f32 v9, v5, v9, -v4
	v_add_nc_u32_e32 v4, 0x5800, v68
	ds_store_2addr_b64 v4, v[6:7], v[8:9] offset0:100 offset1:208
	global_load_b64 v[4:5], v[2:3], off
	global_load_b64 v[7:8], v68, s[4:5] offset:7776
	s_wait_loadcnt 0x0
	v_mul_f32_e32 v6, v5, v8
	scratch_store_b64 off, v[7:8], off offset:72 ; 8-byte Folded Spill
	v_fmac_f32_e32 v6, v4, v7
	v_mul_f32_e32 v4, v4, v8
	s_delay_alu instid0(VALU_DEP_1)
	v_fma_f32 v7, v5, v7, -v4
	v_add_nc_u32_e32 v4, 0x1800, v68
	ds_store_2addr_b64 v4, v[0:1], v[6:7] offset0:96 offset1:204
	v_add_co_u32 v0, vcc_lo, v2, s14
	s_wait_alu 0xfffd
	v_add_co_ci_u32_e32 v1, vcc_lo, s15, v3, vcc_lo
	global_load_b64 v[2:3], v[0:1], off
	global_load_b64 v[5:6], v68, s[4:5] offset:16416
	v_mov_b32_e32 v57, v4
	v_add_co_u32 v0, vcc_lo, v0, s14
	s_wait_alu 0xfffd
	v_add_co_ci_u32_e32 v1, vcc_lo, s15, v1, vcc_lo
	s_delay_alu instid0(VALU_DEP_3) | instskip(SKIP_1) | instid1(VALU_DEP_2)
	v_mov_b32_e32 v78, v57
	v_cmp_gt_u16_e64 vcc_lo, 0x5a, v176
	v_mov_b32_e32 v110, v78
	s_wait_loadcnt 0x0
	v_mul_f32_e32 v4, v3, v6
	scratch_store_b64 off, v[5:6], off offset:88 ; 8-byte Folded Spill
	v_fmac_f32_e32 v4, v2, v5
	v_mul_f32_e32 v2, v2, v6
	s_delay_alu instid0(VALU_DEP_1)
	v_fma_f32 v5, v3, v5, -v2
	ds_store_b64 v68, v[4:5] offset:16416
	global_load_b64 v[0:1], v[0:1], off
	global_load_b64 v[3:4], v68, s[4:5] offset:25056
	s_wait_loadcnt 0x0
	v_mul_f32_e32 v2, v1, v4
	scratch_store_b64 off, v[3:4], off offset:80 ; 8-byte Folded Spill
	v_fmac_f32_e32 v2, v0, v3
	v_mul_f32_e32 v0, v0, v4
	s_delay_alu instid0(VALU_DEP_1)
	v_fma_f32 v3, v1, v3, -v0
	v_add_nc_u32_e32 v0, 0x2000, v68
	ds_store_b64 v68, v[2:3] offset:25056
	global_wb scope:SCOPE_SE
	s_wait_storecnt_dscnt 0x0
	s_barrier_signal -1
	s_barrier_wait -1
	global_inv scope:SCOPE_SE
	ds_load_2addr_b64 v[25:28], v0 offset0:56 offset1:164
	v_dual_mov_b32 v65, v0 :: v_dual_add_nc_u32 v0, 0x4000, v68
	ds_load_2addr_b64 v[16:19], v68 offset1:108
	ds_load_2addr_b64 v[8:11], v20 offset0:48 offset1:156
	v_add_nc_u32_e32 v20, 0x3c00, v68
	ds_load_2addr_b64 v[45:48], v21 offset0:32 offset1:140
	ds_load_2addr_b64 v[29:32], v0 offset0:112 offset1:220
	v_dual_mov_b32 v77, v0 :: v_dual_add_nc_u32 v0, 0x4800, v68
	v_mov_b32_e32 v75, v20
	ds_load_2addr_b64 v[12:15], v23 offset0:88 offset1:196
	ds_load_2addr_b64 v[33:36], v22 offset0:16 offset1:124
	ds_load_2addr_b64 v[4:7], v24 offset0:136 offset1:244
	ds_load_2addr_b64 v[37:40], v0 offset0:72 offset1:180
	v_dual_mov_b32 v79, v0 :: v_dual_add_nc_u32 v0, 0x2c00, v68
	v_mov_b32_e32 v108, v75
	v_dual_mov_b32 v114, v77 :: v_dual_mov_b32 v115, v65
	s_delay_alu instid0(VALU_DEP_3)
	v_mov_b32_e32 v133, v79
	ds_load_2addr_b64 v[41:44], v0 offset0:104 offset1:212
	v_dual_mov_b32 v67, v0 :: v_dual_add_nc_u32 v0, 0x3400, v68
	v_mov_b32_e32 v169, v108
	v_mov_b32_e32 v151, v133
	s_wait_dscnt 0x5
	v_add_f32_e32 v21, v25, v29
	ds_load_2addr_b64 v[49:52], v0 offset0:64 offset1:172
	v_dual_mov_b32 v83, v0 :: v_dual_add_nc_u32 v0, 0x5400, v68
	v_dual_add_f32 v23, v26, v30 :: v_dual_sub_f32 v24, v25, v29
	s_delay_alu instid0(VALU_DEP_2)
	v_dual_mov_b32 v109, v67 :: v_dual_mov_b32 v134, v83
	ds_load_2addr_b64 v[53:56], v0 offset0:120 offset1:228
	v_mov_b32_e32 v82, v0
	ds_load_2addr_b64 v[0:3], v57 offset0:96 offset1:204
	ds_load_2addr_b64 v[57:60], v20 offset0:24 offset1:132
	v_dual_mov_b32 v157, v134 :: v_dual_add_nc_u32 v20, 0x5c00, v68
	v_mov_b32_e32 v120, v82
	ds_load_2addr_b64 v[61:64], v20 offset0:80 offset1:188
	v_mov_b32_e32 v74, v20
	v_add_f32_e32 v20, v16, v25
	v_fma_f32 v16, -0.5, v21, v16
	v_sub_f32_e32 v21, v26, v30
	v_add_f32_e32 v25, v27, v31
	global_wb scope:SCOPE_SE
	s_wait_dscnt 0x0
	v_add_f32_e32 v20, v20, v29
	v_add_f32_e32 v29, v33, v37
	v_fmamk_f32 v22, v21, 0x3f5db3d7, v16
	v_dual_fmac_f32 v16, 0xbf5db3d7, v21 :: v_dual_add_f32 v21, v17, v26
	v_fma_f32 v17, -0.5, v23, v17
	s_barrier_signal -1
	s_barrier_wait -1
	global_inv scope:SCOPE_SE
	v_add_f32_e32 v21, v21, v30
	v_fmamk_f32 v23, v24, 0xbf5db3d7, v17
	v_dual_fmac_f32 v17, 0x3f5db3d7, v24 :: v_dual_add_f32 v24, v18, v27
	v_fma_f32 v18, -0.5, v25, v18
	v_dual_sub_f32 v25, v28, v32 :: v_dual_mov_b32 v132, v74
	s_delay_alu instid0(VALU_DEP_3) | instskip(NEXT) | instid1(VALU_DEP_2)
	v_add_f32_e32 v24, v24, v31
	v_fmamk_f32 v26, v25, 0x3f5db3d7, v18
	v_dual_fmac_f32 v18, 0xbf5db3d7, v25 :: v_dual_add_f32 v25, v19, v28
	v_add_f32_e32 v28, v28, v32
	s_delay_alu instid0(VALU_DEP_2) | instskip(NEXT) | instid1(VALU_DEP_2)
	v_add_f32_e32 v25, v25, v32
	v_dual_fmac_f32 v19, -0.5, v28 :: v_dual_sub_f32 v28, v27, v31
	v_dual_add_f32 v31, v34, v38 :: v_dual_sub_f32 v32, v33, v37
	s_delay_alu instid0(VALU_DEP_2) | instskip(SKIP_3) | instid1(VALU_DEP_3)
	v_fmamk_f32 v27, v28, 0xbf5db3d7, v19
	v_dual_fmac_f32 v19, 0x3f5db3d7, v28 :: v_dual_add_f32 v28, v12, v33
	v_fma_f32 v12, -0.5, v29, v12
	v_sub_f32_e32 v29, v34, v38
	v_dual_add_f32 v33, v35, v39 :: v_dual_add_f32 v28, v28, v37
	v_add_f32_e32 v37, v41, v45
	s_delay_alu instid0(VALU_DEP_3) | instskip(SKIP_2) | instid1(VALU_DEP_2)
	v_fmamk_f32 v30, v29, 0x3f5db3d7, v12
	v_dual_fmac_f32 v12, 0xbf5db3d7, v29 :: v_dual_add_f32 v29, v13, v34
	v_fma_f32 v13, -0.5, v31, v13
	v_add_f32_e32 v29, v29, v38
	s_delay_alu instid0(VALU_DEP_2) | instskip(SKIP_3) | instid1(VALU_DEP_3)
	v_fmamk_f32 v31, v32, 0xbf5db3d7, v13
	v_dual_fmac_f32 v13, 0x3f5db3d7, v32 :: v_dual_add_f32 v32, v14, v35
	v_fma_f32 v14, -0.5, v33, v14
	v_sub_f32_e32 v33, v36, v40
	v_add_f32_e32 v32, v32, v39
	s_delay_alu instid0(VALU_DEP_2) | instskip(SKIP_2) | instid1(VALU_DEP_2)
	v_fmamk_f32 v34, v33, 0x3f5db3d7, v14
	v_dual_fmac_f32 v14, 0xbf5db3d7, v33 :: v_dual_add_f32 v33, v15, v36
	v_add_f32_e32 v36, v36, v40
	v_add_f32_e32 v33, v33, v40
	s_delay_alu instid0(VALU_DEP_2) | instskip(SKIP_1) | instid1(VALU_DEP_2)
	v_dual_fmac_f32 v15, -0.5, v36 :: v_dual_sub_f32 v36, v35, v39
	v_dual_add_f32 v39, v42, v46 :: v_dual_sub_f32 v40, v41, v45
	v_fmamk_f32 v35, v36, 0xbf5db3d7, v15
	v_dual_fmac_f32 v15, 0x3f5db3d7, v36 :: v_dual_add_f32 v36, v8, v41
	v_fma_f32 v8, -0.5, v37, v8
	v_sub_f32_e32 v37, v42, v46
	s_delay_alu instid0(VALU_DEP_3) | instskip(SKIP_1) | instid1(VALU_DEP_3)
	v_dual_add_f32 v41, v43, v47 :: v_dual_add_f32 v36, v36, v45
	v_add_f32_e32 v45, v49, v53
	v_fmamk_f32 v38, v37, 0x3f5db3d7, v8
	v_dual_fmac_f32 v8, 0xbf5db3d7, v37 :: v_dual_add_f32 v37, v9, v42
	v_fma_f32 v9, -0.5, v39, v9
	s_delay_alu instid0(VALU_DEP_2) | instskip(NEXT) | instid1(VALU_DEP_2)
	v_add_f32_e32 v37, v37, v46
	v_fmamk_f32 v39, v40, 0xbf5db3d7, v9
	v_dual_fmac_f32 v9, 0x3f5db3d7, v40 :: v_dual_add_f32 v40, v10, v43
	v_fma_f32 v10, -0.5, v41, v10
	v_sub_f32_e32 v41, v44, v48
	s_delay_alu instid0(VALU_DEP_3) | instskip(NEXT) | instid1(VALU_DEP_2)
	v_add_f32_e32 v40, v40, v47
	v_fmamk_f32 v42, v41, 0x3f5db3d7, v10
	v_dual_fmac_f32 v10, 0xbf5db3d7, v41 :: v_dual_add_f32 v41, v11, v44
	v_add_f32_e32 v44, v44, v48
	s_delay_alu instid0(VALU_DEP_2) | instskip(NEXT) | instid1(VALU_DEP_2)
	v_add_f32_e32 v41, v41, v48
	v_dual_fmac_f32 v11, -0.5, v44 :: v_dual_sub_f32 v44, v43, v47
	v_dual_add_f32 v47, v50, v54 :: v_dual_sub_f32 v48, v49, v53
	s_delay_alu instid0(VALU_DEP_2) | instskip(SKIP_3) | instid1(VALU_DEP_3)
	v_fmamk_f32 v43, v44, 0xbf5db3d7, v11
	v_dual_fmac_f32 v11, 0x3f5db3d7, v44 :: v_dual_add_f32 v44, v4, v49
	v_fma_f32 v4, -0.5, v45, v4
	v_sub_f32_e32 v45, v50, v54
	v_dual_add_f32 v49, v51, v55 :: v_dual_add_f32 v44, v44, v53
	v_add_f32_e32 v53, v57, v61
	s_delay_alu instid0(VALU_DEP_3) | instskip(SKIP_2) | instid1(VALU_DEP_2)
	v_fmamk_f32 v46, v45, 0x3f5db3d7, v4
	v_dual_fmac_f32 v4, 0xbf5db3d7, v45 :: v_dual_add_f32 v45, v5, v50
	v_fma_f32 v5, -0.5, v47, v5
	v_add_f32_e32 v45, v45, v54
	s_delay_alu instid0(VALU_DEP_2) | instskip(SKIP_3) | instid1(VALU_DEP_3)
	v_fmamk_f32 v47, v48, 0xbf5db3d7, v5
	v_dual_fmac_f32 v5, 0x3f5db3d7, v48 :: v_dual_add_f32 v48, v6, v51
	v_fma_f32 v6, -0.5, v49, v6
	v_sub_f32_e32 v49, v52, v56
	v_add_f32_e32 v48, v48, v55
	s_delay_alu instid0(VALU_DEP_2) | instskip(SKIP_2) | instid1(VALU_DEP_2)
	v_fmamk_f32 v50, v49, 0x3f5db3d7, v6
	v_dual_fmac_f32 v6, 0xbf5db3d7, v49 :: v_dual_add_f32 v49, v7, v52
	v_add_f32_e32 v52, v52, v56
	v_add_f32_e32 v49, v49, v56
	s_delay_alu instid0(VALU_DEP_2) | instskip(SKIP_1) | instid1(VALU_DEP_2)
	v_dual_fmac_f32 v7, -0.5, v52 :: v_dual_sub_f32 v52, v51, v55
	v_dual_add_f32 v55, v58, v62 :: v_dual_sub_f32 v56, v57, v61
	v_fmamk_f32 v51, v52, 0xbf5db3d7, v7
	v_dual_fmac_f32 v7, 0x3f5db3d7, v52 :: v_dual_add_f32 v52, v0, v57
	v_fma_f32 v0, -0.5, v53, v0
	v_sub_f32_e32 v53, v58, v62
	s_delay_alu instid0(VALU_DEP_3) | instskip(NEXT) | instid1(VALU_DEP_2)
	v_dual_add_f32 v57, v59, v63 :: v_dual_add_f32 v52, v52, v61
	v_fmamk_f32 v54, v53, 0x3f5db3d7, v0
	v_dual_fmac_f32 v0, 0xbf5db3d7, v53 :: v_dual_add_f32 v53, v1, v58
	v_fma_f32 v1, -0.5, v55, v1
	s_delay_alu instid0(VALU_DEP_2) | instskip(NEXT) | instid1(VALU_DEP_2)
	v_add_f32_e32 v53, v53, v62
	v_fmamk_f32 v55, v56, 0xbf5db3d7, v1
	v_dual_fmac_f32 v1, 0x3f5db3d7, v56 :: v_dual_add_f32 v56, v2, v59
	v_fma_f32 v2, -0.5, v57, v2
	v_sub_f32_e32 v57, v60, v64
	s_delay_alu instid0(VALU_DEP_3) | instskip(NEXT) | instid1(VALU_DEP_2)
	v_add_f32_e32 v56, v56, v63
	v_fmamk_f32 v58, v57, 0x3f5db3d7, v2
	v_dual_fmac_f32 v2, 0xbf5db3d7, v57 :: v_dual_add_f32 v57, v3, v60
	v_add_f32_e32 v60, v60, v64
	s_delay_alu instid0(VALU_DEP_2) | instskip(NEXT) | instid1(VALU_DEP_2)
	v_add_f32_e32 v57, v57, v64
	v_dual_fmac_f32 v3, -0.5, v60 :: v_dual_sub_f32 v60, v59, v63
	s_delay_alu instid0(VALU_DEP_1) | instskip(SKIP_2) | instid1(VALU_DEP_1)
	v_fmamk_f32 v59, v60, 0xbf5db3d7, v3
	v_fmac_f32_e32 v3, 0x3f5db3d7, v60
	v_mul_lo_u16 v60, v176, 3
	v_and_b32_e32 v60, 0xffff, v60
	s_delay_alu instid0(VALU_DEP_1) | instskip(SKIP_4) | instid1(VALU_DEP_1)
	v_lshlrev_b32_e32 v60, 3, v60
	scratch_store_b32 off, v60, off offset:288 ; 4-byte Folded Spill
	ds_store_2addr_b64 v60, v[20:21], v[22:23] offset1:1
	ds_store_b64 v60, v[16:17] offset:16
	v_mul_u32_u24_e32 v16, 3, v163
	v_lshlrev_b32_e32 v16, 3, v16
	scratch_store_b32 off, v16, off offset:284 ; 4-byte Folded Spill
	ds_store_2addr_b64 v16, v[24:25], v[26:27] offset1:1
	ds_store_b64 v16, v[18:19] offset:16
	v_mul_u32_u24_e32 v16, 3, v162
	s_delay_alu instid0(VALU_DEP_1) | instskip(SKIP_4) | instid1(VALU_DEP_1)
	v_lshlrev_b32_e32 v16, 3, v16
	scratch_store_b32 off, v16, off offset:280 ; 4-byte Folded Spill
	ds_store_2addr_b64 v16, v[28:29], v[30:31] offset1:1
	ds_store_b64 v16, v[12:13] offset:16
	v_mul_u32_u24_e32 v12, 3, v160
	v_lshlrev_b32_e32 v12, 3, v12
	scratch_store_b32 off, v12, off offset:276 ; 4-byte Folded Spill
	ds_store_2addr_b64 v12, v[32:33], v[34:35] offset1:1
	ds_store_b64 v12, v[14:15] offset:16
	v_mul_u32_u24_e32 v12, 3, v161
	;; [unrolled: 11-line block ×4, first 2 shown]
	s_delay_alu instid0(VALU_DEP_1)
	v_lshlrev_b32_e32 v4, 3, v4
	scratch_store_b32 off, v4, off offset:256 ; 4-byte Folded Spill
	ds_store_2addr_b64 v4, v[52:53], v[54:55] offset1:1
	ds_store_b64 v4, v[0:1] offset:16
	v_mul_u32_u24_e32 v0, 3, v69
	v_mul_lo_u16 v4, 0xab, v164
	s_delay_alu instid0(VALU_DEP_2)
	v_lshlrev_b32_e32 v0, 3, v0
	scratch_store_b32 off, v0, off offset:252 ; 4-byte Folded Spill
	ds_store_2addr_b64 v0, v[56:57], v[58:59] offset1:1
	ds_store_b64 v0, v[2:3] offset:16
	global_wb scope:SCOPE_SE
	s_wait_storecnt_dscnt 0x0
	s_barrier_signal -1
	s_barrier_wait -1
	global_inv scope:SCOPE_SE
	ds_load_2addr_b64 v[56:59], v68 offset1:108
	ds_load_2addr_b64 v[10:13], v65 offset0:56 offset1:164
	ds_load_2addr_b64 v[60:63], v74 offset0:80 offset1:188
	v_and_b32_e32 v74, 0xff, v176
	ds_load_2addr_b64 v[26:29], v67 offset0:104 offset1:212
	ds_load_2addr_b64 v[22:25], v66 offset0:32 offset1:140
	ds_load_2addr_b64 v[64:67], v75 offset0:24 offset1:132
	ds_load_2addr_b64 v[48:51], v76 offset0:48 offset1:156
	v_mul_lo_u16 v0, 0xab, v74
	ds_load_2addr_b64 v[6:9], v77 offset0:112 offset1:220
	ds_load_2addr_b64 v[18:21], v80 offset0:16 offset1:124
	;; [unrolled: 1-line block ×4, first 2 shown]
	v_lshrrev_b16 v75, 9, v0
	ds_load_2addr_b64 v[52:55], v81 offset0:88 offset1:196
	ds_load_2addr_b64 v[30:33], v82 offset0:120 offset1:228
	;; [unrolled: 1-line block ×4, first 2 shown]
	v_mul_lo_u16 v0, v75, 3
	s_delay_alu instid0(VALU_DEP_1) | instskip(NEXT) | instid1(VALU_DEP_1)
	v_sub_nc_u16 v0, v176, v0
	v_and_b32_e32 v76, 0xff, v0
	s_delay_alu instid0(VALU_DEP_1)
	v_lshlrev_b32_e32 v0, 4, v76
	global_load_b128 v[77:80], v0, s[6:7]
	s_wait_loadcnt 0x0
	scratch_store_b128 off, v[77:80], off offset:480 ; 16-byte Folded Spill
	s_wait_dscnt 0x7
	v_mul_f32_e32 v1, v7, v80
	v_mul_f32_e32 v3, v6, v80
	v_lshrrev_b16 v80, 9, v4
	v_mul_f32_e32 v0, v11, v78
	v_mul_f32_e32 v2, v10, v78
	v_fma_f32 v1, v6, v79, -v1
	v_fmac_f32_e32 v3, v7, v79
	v_mul_lo_u16 v4, v80, 3
	v_fma_f32 v0, v10, v77, -v0
	v_fmac_f32_e32 v2, v11, v77
	s_delay_alu instid0(VALU_DEP_3) | instskip(NEXT) | instid1(VALU_DEP_1)
	v_sub_nc_u16 v4, v163, v4
	v_and_b32_e32 v81, 0xff, v4
	s_delay_alu instid0(VALU_DEP_1)
	v_lshlrev_b32_e32 v4, 4, v81
	global_load_b128 v[234:237], v4, s[6:7]
	s_wait_loadcnt 0x0
	v_mul_f32_e32 v6, v9, v237
	v_dual_mul_f32 v4, v13, v235 :: v_dual_mul_f32 v7, v8, v237
	v_mul_f32_e32 v5, v12, v235
	s_delay_alu instid0(VALU_DEP_3) | instskip(SKIP_1) | instid1(VALU_DEP_4)
	v_fma_f32 v6, v8, v236, -v6
	v_mul_u32_u24_e32 v8, 0xaaab, v167
	v_fma_f32 v4, v12, v234, -v4
	v_mul_u32_u24_e32 v12, 0xaaab, v166
	v_fmac_f32_e32 v5, v13, v234
	v_fmac_f32_e32 v7, v9, v236
	v_lshrrev_b32_e32 v82, 17, v8
	s_delay_alu instid0(VALU_DEP_4) | instskip(NEXT) | instid1(VALU_DEP_2)
	v_lshrrev_b32_e32 v84, 17, v12
	v_mul_lo_u16 v8, v82, 3
	s_delay_alu instid0(VALU_DEP_2) | instskip(NEXT) | instid1(VALU_DEP_2)
	v_mul_lo_u16 v12, v84, 3
	v_sub_nc_u16 v83, v162, v8
	s_delay_alu instid0(VALU_DEP_2) | instskip(NEXT) | instid1(VALU_DEP_2)
	v_sub_nc_u16 v85, v160, v12
	v_lshlrev_b16 v8, 1, v83
	s_delay_alu instid0(VALU_DEP_2) | instskip(NEXT) | instid1(VALU_DEP_2)
	v_lshlrev_b16 v12, 1, v85
	v_and_b32_e32 v8, 0xffff, v8
	s_delay_alu instid0(VALU_DEP_2) | instskip(NEXT) | instid1(VALU_DEP_2)
	v_and_b32_e32 v12, 0xffff, v12
	v_lshlrev_b32_e32 v8, 3, v8
	s_delay_alu instid0(VALU_DEP_2)
	v_lshlrev_b32_e32 v12, 3, v12
	s_clause 0x1
	global_load_b128 v[230:233], v8, s[6:7]
	global_load_b128 v[226:229], v12, s[6:7]
	s_wait_loadcnt_dscnt 0x105
	v_mul_f32_e32 v10, v15, v233
	v_dual_mul_f32 v11, v14, v233 :: v_dual_mul_f32 v8, v19, v231
	v_mul_f32_e32 v9, v18, v231
	s_wait_loadcnt 0x0
	v_mul_f32_e32 v12, v21, v227
	v_fma_f32 v10, v14, v232, -v10
	v_mul_f32_e32 v14, v17, v229
	v_fma_f32 v8, v18, v230, -v8
	v_fmac_f32_e32 v9, v19, v230
	v_fmac_f32_e32 v11, v15, v232
	v_fma_f32 v12, v20, v226, -v12
	v_fma_f32 v91, v16, v228, -v14
	v_mul_u32_u24_e32 v14, 0xaaab, v165
	v_mul_f32_e32 v13, v20, v227
	v_mul_f32_e32 v93, v16, v229
	s_delay_alu instid0(VALU_DEP_3) | instskip(NEXT) | instid1(VALU_DEP_3)
	v_lshrrev_b32_e32 v86, 17, v14
	v_fmac_f32_e32 v13, v21, v226
	s_delay_alu instid0(VALU_DEP_3) | instskip(NEXT) | instid1(VALU_DEP_3)
	v_fmac_f32_e32 v93, v17, v228
	v_mul_lo_u16 v14, v86, 3
	s_delay_alu instid0(VALU_DEP_1) | instskip(NEXT) | instid1(VALU_DEP_1)
	v_sub_nc_u16 v87, v161, v14
	v_lshlrev_b16 v14, 1, v87
	s_delay_alu instid0(VALU_DEP_1) | instskip(NEXT) | instid1(VALU_DEP_1)
	v_and_b32_e32 v14, 0xffff, v14
	v_lshlrev_b32_e32 v14, 3, v14
	global_load_b128 v[214:217], v14, s[6:7]
	s_wait_loadcnt 0x0
	v_mul_f32_e32 v14, v27, v215
	v_mul_f32_e32 v92, v26, v215
	;; [unrolled: 1-line block ×3, first 2 shown]
	s_delay_alu instid0(VALU_DEP_3) | instskip(SKIP_1) | instid1(VALU_DEP_3)
	v_fma_f32 v90, v26, v214, -v14
	v_mul_f32_e32 v14, v23, v217
	v_fmac_f32_e32 v38, v23, v216
	v_fmac_f32_e32 v92, v27, v214
	s_delay_alu instid0(VALU_DEP_3) | instskip(SKIP_1) | instid1(VALU_DEP_1)
	v_fma_f32 v94, v22, v216, -v14
	v_and_b32_e32 v14, 0xffff, v73
	v_mul_u32_u24_e32 v14, 0xaaab, v14
	s_delay_alu instid0(VALU_DEP_1) | instskip(NEXT) | instid1(VALU_DEP_1)
	v_lshrrev_b32_e32 v88, 17, v14
	v_mul_lo_u16 v14, v88, 3
	s_delay_alu instid0(VALU_DEP_1) | instskip(NEXT) | instid1(VALU_DEP_1)
	v_sub_nc_u16 v89, v73, v14
	v_lshlrev_b16 v14, 1, v89
	s_delay_alu instid0(VALU_DEP_1) | instskip(NEXT) | instid1(VALU_DEP_1)
	v_and_b32_e32 v14, 0xffff, v14
	v_lshlrev_b32_e32 v14, 3, v14
	global_load_b128 v[244:247], v14, s[6:7]
	s_wait_loadcnt 0x0
	v_dual_mul_f32 v14, v29, v245 :: v_dual_mul_f32 v97, v24, v247
	v_mul_f32_e32 v95, v28, v245
	s_delay_alu instid0(VALU_DEP_2) | instskip(SKIP_1) | instid1(VALU_DEP_4)
	v_fma_f32 v39, v28, v244, -v14
	v_mul_f32_e32 v14, v25, v247
	v_fmac_f32_e32 v97, v25, v246
	s_delay_alu instid0(VALU_DEP_4) | instskip(NEXT) | instid1(VALU_DEP_3)
	v_fmac_f32_e32 v95, v29, v244
	v_fma_f32 v96, v24, v246, -v14
	v_and_b32_e32 v14, 0xffff, v72
	s_delay_alu instid0(VALU_DEP_1) | instskip(NEXT) | instid1(VALU_DEP_1)
	v_mul_u32_u24_e32 v14, 0xaaab, v14
	v_lshrrev_b32_e32 v73, 17, v14
	s_delay_alu instid0(VALU_DEP_1) | instskip(NEXT) | instid1(VALU_DEP_1)
	v_mul_lo_u16 v14, v73, 3
	v_sub_nc_u16 v72, v72, v14
	s_delay_alu instid0(VALU_DEP_1) | instskip(NEXT) | instid1(VALU_DEP_1)
	v_lshlrev_b16 v14, 1, v72
	v_and_b32_e32 v14, 0xffff, v14
	s_delay_alu instid0(VALU_DEP_1) | instskip(SKIP_3) | instid1(VALU_DEP_1)
	v_lshlrev_b32_e32 v14, 3, v14
	global_load_b128 v[248:251], v14, s[6:7]
	s_wait_loadcnt_dscnt 0x0
	v_dual_mul_f32 v14, v35, v249 :: v_dual_mul_f32 v99, v30, v251
	v_fma_f32 v98, v34, v248, -v14
	v_mul_f32_e32 v34, v34, v249
	v_mul_f32_e32 v14, v31, v251
	s_delay_alu instid0(VALU_DEP_4) | instskip(NEXT) | instid1(VALU_DEP_3)
	v_fmac_f32_e32 v99, v31, v250
	v_fmac_f32_e32 v34, v35, v248
	s_delay_alu instid0(VALU_DEP_3) | instskip(SKIP_1) | instid1(VALU_DEP_1)
	v_fma_f32 v35, v30, v250, -v14
	v_and_b32_e32 v14, 0xffff, v71
	v_mul_u32_u24_e32 v14, 0xaaab, v14
	s_delay_alu instid0(VALU_DEP_1) | instskip(NEXT) | instid1(VALU_DEP_1)
	v_lshrrev_b32_e32 v77, 17, v14
	v_mul_lo_u16 v14, v77, 3
	s_delay_alu instid0(VALU_DEP_1) | instskip(NEXT) | instid1(VALU_DEP_1)
	v_sub_nc_u16 v71, v71, v14
	v_lshlrev_b16 v14, 1, v71
	s_delay_alu instid0(VALU_DEP_1) | instskip(NEXT) | instid1(VALU_DEP_1)
	v_and_b32_e32 v14, 0xffff, v14
	v_lshlrev_b32_e32 v14, 3, v14
	global_load_b128 v[240:243], v14, s[6:7]
	s_wait_loadcnt 0x0
	v_mul_f32_e32 v14, v37, v241
	s_delay_alu instid0(VALU_DEP_1) | instskip(SKIP_2) | instid1(VALU_DEP_2)
	v_fma_f32 v100, v36, v240, -v14
	v_mul_f32_e32 v36, v36, v241
	v_mul_f32_e32 v14, v33, v243
	v_fmac_f32_e32 v36, v37, v240
	s_delay_alu instid0(VALU_DEP_2) | instskip(SKIP_2) | instid1(VALU_DEP_2)
	v_fma_f32 v37, v32, v242, -v14
	v_and_b32_e32 v14, 0xffff, v70
	v_mul_f32_e32 v32, v32, v243
	v_mul_u32_u24_e32 v14, 0xaaab, v14
	s_delay_alu instid0(VALU_DEP_2) | instskip(NEXT) | instid1(VALU_DEP_2)
	v_fmac_f32_e32 v32, v33, v242
	v_lshrrev_b32_e32 v78, 17, v14
	s_delay_alu instid0(VALU_DEP_1) | instskip(NEXT) | instid1(VALU_DEP_1)
	v_mul_lo_u16 v14, v78, 3
	v_sub_nc_u16 v70, v70, v14
	s_delay_alu instid0(VALU_DEP_1) | instskip(NEXT) | instid1(VALU_DEP_1)
	v_lshlrev_b16 v14, 1, v70
	v_and_b32_e32 v14, 0xffff, v14
	s_delay_alu instid0(VALU_DEP_1)
	v_lshlrev_b32_e32 v14, 3, v14
	global_load_b128 v[204:207], v14, s[6:7]
	s_wait_loadcnt 0x0
	v_mul_f32_e32 v14, v65, v205
	v_mul_f32_e32 v101, v64, v205
	v_mul_f32_e32 v103, v60, v207
	s_delay_alu instid0(VALU_DEP_3) | instskip(SKIP_1) | instid1(VALU_DEP_4)
	v_fma_f32 v33, v64, v204, -v14
	v_mul_f32_e32 v14, v61, v207
	v_fmac_f32_e32 v101, v65, v204
	s_delay_alu instid0(VALU_DEP_4) | instskip(NEXT) | instid1(VALU_DEP_3)
	v_fmac_f32_e32 v103, v61, v206
	v_fma_f32 v102, v60, v206, -v14
	v_and_b32_e32 v14, 0xffff, v69
	s_delay_alu instid0(VALU_DEP_1) | instskip(NEXT) | instid1(VALU_DEP_1)
	v_mul_u32_u24_e32 v14, 0xaaab, v14
	v_lshrrev_b32_e32 v79, 17, v14
	s_delay_alu instid0(VALU_DEP_1) | instskip(NEXT) | instid1(VALU_DEP_1)
	v_mul_lo_u16 v14, v79, 3
	v_sub_nc_u16 v69, v69, v14
	s_delay_alu instid0(VALU_DEP_1) | instskip(NEXT) | instid1(VALU_DEP_1)
	v_lshlrev_b16 v14, 1, v69
	v_and_b32_e32 v14, 0xffff, v14
	s_delay_alu instid0(VALU_DEP_1)
	v_lshlrev_b32_e32 v14, 3, v14
	global_load_b128 v[200:203], v14, s[6:7]
	global_wb scope:SCOPE_SE
	s_wait_loadcnt 0x0
	s_wait_storecnt 0x0
	s_barrier_signal -1
	s_barrier_wait -1
	global_inv scope:SCOPE_SE
	v_mul_f32_e32 v14, v67, v201
	v_mul_f32_e32 v105, v66, v201
	;; [unrolled: 1-line block ×3, first 2 shown]
	s_delay_alu instid0(VALU_DEP_3) | instskip(SKIP_1) | instid1(VALU_DEP_4)
	v_fma_f32 v104, v66, v200, -v14
	v_mul_f32_e32 v14, v63, v203
	v_fmac_f32_e32 v105, v67, v200
	s_delay_alu instid0(VALU_DEP_4) | instskip(NEXT) | instid1(VALU_DEP_3)
	v_fmac_f32_e32 v107, v63, v202
	v_fma_f32 v106, v62, v202, -v14
	v_add_f32_e32 v14, v56, v0
	s_delay_alu instid0(VALU_DEP_1) | instskip(SKIP_2) | instid1(VALU_DEP_2)
	v_add_f32_e32 v26, v14, v1
	v_add_f32_e32 v14, v0, v1
	v_dual_sub_f32 v0, v0, v1 :: v_dual_add_f32 v1, v98, v35
	v_fma_f32 v24, -0.5, v14, v56
	v_sub_f32_e32 v14, v2, v3
	s_delay_alu instid0(VALU_DEP_3) | instskip(SKIP_1) | instid1(VALU_DEP_3)
	v_fma_f32 v64, -0.5, v1, v44
	v_sub_f32_e32 v1, v34, v99
	v_fmamk_f32 v30, v14, 0x3f5db3d7, v24
	v_fmac_f32_e32 v24, 0xbf5db3d7, v14
	v_add_f32_e32 v14, v57, v2
	v_add_f32_e32 v2, v2, v3
	s_delay_alu instid0(VALU_DEP_2) | instskip(NEXT) | instid1(VALU_DEP_2)
	v_add_f32_e32 v27, v14, v3
	v_fma_f32 v25, -0.5, v2, v57
	v_dual_add_f32 v3, v34, v99 :: v_dual_fmamk_f32 v2, v1, 0x3f5db3d7, v64
	v_dual_fmac_f32 v64, 0xbf5db3d7, v1 :: v_dual_add_f32 v1, v45, v34
	s_delay_alu instid0(VALU_DEP_3) | instskip(SKIP_4) | instid1(VALU_DEP_3)
	v_fmamk_f32 v31, v0, 0xbf5db3d7, v25
	v_fmac_f32_e32 v25, 0x3f5db3d7, v0
	v_add_f32_e32 v0, v58, v4
	v_fma_f32 v65, -0.5, v3, v45
	v_sub_f32_e32 v34, v98, v35
	v_dual_add_f32 v1, v1, v99 :: v_dual_add_f32 v28, v0, v6
	s_delay_alu instid0(VALU_DEP_2) | instskip(SKIP_1) | instid1(VALU_DEP_2)
	v_dual_add_f32 v0, v4, v6 :: v_dual_fmamk_f32 v3, v34, 0xbf5db3d7, v65
	v_dual_fmac_f32 v65, 0x3f5db3d7, v34 :: v_dual_add_f32 v34, v46, v100
	v_fma_f32 v58, -0.5, v0, v58
	v_sub_f32_e32 v0, v5, v7
	s_delay_alu instid0(VALU_DEP_3) | instskip(SKIP_1) | instid1(VALU_DEP_3)
	v_add_f32_e32 v60, v34, v37
	v_add_f32_e32 v34, v100, v37
	v_fmamk_f32 v66, v0, 0x3f5db3d7, v58
	v_fmac_f32_e32 v58, 0xbf5db3d7, v0
	v_add_f32_e32 v0, v59, v5
	s_delay_alu instid0(VALU_DEP_4) | instskip(SKIP_1) | instid1(VALU_DEP_3)
	v_fma_f32 v46, -0.5, v34, v46
	v_sub_f32_e32 v34, v36, v32
	v_add_f32_e32 v29, v0, v7
	v_add_f32_e32 v0, v5, v7
	s_delay_alu instid0(VALU_DEP_3) | instskip(SKIP_2) | instid1(VALU_DEP_4)
	v_fmamk_f32 v62, v34, 0x3f5db3d7, v46
	v_fmac_f32_e32 v46, 0xbf5db3d7, v34
	v_add_f32_e32 v34, v47, v36
	v_dual_fmac_f32 v59, -0.5, v0 :: v_dual_sub_f32 v0, v4, v6
	s_delay_alu instid0(VALU_DEP_2) | instskip(SKIP_1) | instid1(VALU_DEP_3)
	v_add_f32_e32 v61, v34, v32
	v_add_f32_e32 v32, v36, v32
	v_fmamk_f32 v67, v0, 0xbf5db3d7, v59
	v_fmac_f32_e32 v59, 0x3f5db3d7, v0
	v_add_f32_e32 v0, v52, v8
	s_delay_alu instid0(VALU_DEP_4) | instskip(NEXT) | instid1(VALU_DEP_2)
	v_dual_fmac_f32 v47, -0.5, v32 :: v_dual_sub_f32 v32, v100, v37
	v_add_f32_e32 v20, v0, v10
	v_add_f32_e32 v0, v8, v10
	s_delay_alu instid0(VALU_DEP_3) | instskip(SKIP_1) | instid1(VALU_DEP_3)
	v_fmamk_f32 v63, v32, 0xbf5db3d7, v47
	v_dual_fmac_f32 v47, 0x3f5db3d7, v32 :: v_dual_add_f32 v32, v40, v33
	v_fma_f32 v18, -0.5, v0, v52
	v_sub_f32_e32 v0, v9, v11
	s_delay_alu instid0(VALU_DEP_3) | instskip(SKIP_1) | instid1(VALU_DEP_3)
	v_add_f32_e32 v52, v32, v102
	v_add_f32_e32 v32, v33, v102
	v_fmamk_f32 v22, v0, 0x3f5db3d7, v18
	v_fmac_f32_e32 v18, 0xbf5db3d7, v0
	v_add_f32_e32 v0, v53, v9
	s_delay_alu instid0(VALU_DEP_1) | instskip(SKIP_1) | instid1(VALU_DEP_1)
	v_add_f32_e32 v21, v0, v11
	v_add_f32_e32 v0, v9, v11
	v_fma_f32 v19, -0.5, v0, v53
	v_sub_f32_e32 v0, v8, v10
	s_delay_alu instid0(VALU_DEP_1) | instskip(SKIP_2) | instid1(VALU_DEP_1)
	v_fmamk_f32 v23, v0, 0xbf5db3d7, v19
	v_fmac_f32_e32 v19, 0x3f5db3d7, v0
	v_add_f32_e32 v0, v54, v12
	v_add_f32_e32 v14, v0, v91
	;; [unrolled: 1-line block ×3, first 2 shown]
	s_delay_alu instid0(VALU_DEP_1) | instskip(SKIP_1) | instid1(VALU_DEP_1)
	v_fma_f32 v54, -0.5, v0, v54
	v_sub_f32_e32 v0, v13, v93
	v_fmamk_f32 v16, v0, 0x3f5db3d7, v54
	v_fmac_f32_e32 v54, 0xbf5db3d7, v0
	v_add_f32_e32 v0, v55, v13
	s_delay_alu instid0(VALU_DEP_1) | instskip(SKIP_1) | instid1(VALU_DEP_1)
	v_add_f32_e32 v15, v0, v93
	v_add_f32_e32 v0, v13, v93
	v_dual_fmac_f32 v55, -0.5, v0 :: v_dual_sub_f32 v0, v12, v91
	s_delay_alu instid0(VALU_DEP_1) | instskip(SKIP_1) | instid1(VALU_DEP_1)
	v_fmamk_f32 v17, v0, 0xbf5db3d7, v55
	v_dual_fmac_f32 v55, 0x3f5db3d7, v0 :: v_dual_add_f32 v0, v48, v90
	v_add_f32_e32 v10, v0, v94
	v_add_f32_e32 v0, v90, v94
	s_delay_alu instid0(VALU_DEP_1) | instskip(SKIP_3) | instid1(VALU_DEP_3)
	v_fma_f32 v8, -0.5, v0, v48
	v_sub_f32_e32 v0, v92, v38
	v_fma_f32 v48, -0.5, v32, v40
	v_sub_f32_e32 v32, v101, v103
	v_fmamk_f32 v12, v0, 0x3f5db3d7, v8
	v_fmac_f32_e32 v8, 0xbf5db3d7, v0
	v_add_f32_e32 v0, v49, v92
	s_delay_alu instid0(VALU_DEP_4) | instskip(SKIP_1) | instid1(VALU_DEP_3)
	v_fmamk_f32 v56, v32, 0x3f5db3d7, v48
	v_fmac_f32_e32 v48, 0xbf5db3d7, v32
	v_dual_add_f32 v32, v41, v101 :: v_dual_add_f32 v11, v0, v38
	v_add_f32_e32 v0, v92, v38
	s_delay_alu instid0(VALU_DEP_2) | instskip(SKIP_1) | instid1(VALU_DEP_3)
	v_add_f32_e32 v53, v32, v103
	v_add_f32_e32 v32, v101, v103
	v_fma_f32 v9, -0.5, v0, v49
	v_sub_f32_e32 v0, v90, v94
	s_delay_alu instid0(VALU_DEP_3) | instskip(NEXT) | instid1(VALU_DEP_2)
	v_fma_f32 v49, -0.5, v32, v41
	v_dual_sub_f32 v32, v33, v102 :: v_dual_fmamk_f32 v13, v0, 0xbf5db3d7, v9
	v_dual_fmac_f32 v9, 0x3f5db3d7, v0 :: v_dual_add_f32 v0, v50, v39
	s_delay_alu instid0(VALU_DEP_2) | instskip(SKIP_2) | instid1(VALU_DEP_4)
	v_fmamk_f32 v57, v32, 0xbf5db3d7, v49
	v_fmac_f32_e32 v49, 0x3f5db3d7, v32
	v_add_f32_e32 v32, v42, v104
	v_add_f32_e32 v4, v0, v96
	;; [unrolled: 1-line block ×3, first 2 shown]
	s_delay_alu instid0(VALU_DEP_3) | instskip(SKIP_1) | instid1(VALU_DEP_3)
	v_add_f32_e32 v40, v32, v106
	v_add_f32_e32 v32, v104, v106
	v_fma_f32 v50, -0.5, v0, v50
	v_sub_f32_e32 v0, v95, v97
	s_delay_alu instid0(VALU_DEP_3) | instskip(SKIP_1) | instid1(VALU_DEP_3)
	v_fma_f32 v42, -0.5, v32, v42
	v_sub_f32_e32 v32, v105, v107
	v_fmamk_f32 v6, v0, 0x3f5db3d7, v50
	v_fmac_f32_e32 v50, 0xbf5db3d7, v0
	v_add_f32_e32 v0, v51, v95
	s_delay_alu instid0(VALU_DEP_1) | instskip(SKIP_1) | instid1(VALU_DEP_1)
	v_add_f32_e32 v5, v0, v97
	v_add_f32_e32 v0, v95, v97
	v_fmac_f32_e32 v51, -0.5, v0
	v_sub_f32_e32 v0, v39, v96
	s_delay_alu instid0(VALU_DEP_1) | instskip(SKIP_4) | instid1(VALU_DEP_4)
	v_fmamk_f32 v7, v0, 0xbf5db3d7, v51
	v_dual_fmac_f32 v51, 0x3f5db3d7, v0 :: v_dual_add_f32 v0, v44, v98
	v_fmamk_f32 v44, v32, 0x3f5db3d7, v42
	v_fmac_f32_e32 v42, 0xbf5db3d7, v32
	v_add_f32_e32 v32, v43, v105
	v_add_f32_e32 v0, v0, v35
	s_delay_alu instid0(VALU_DEP_2) | instskip(SKIP_1) | instid1(VALU_DEP_1)
	v_add_f32_e32 v41, v32, v107
	v_add_f32_e32 v32, v105, v107
	v_dual_fmac_f32 v43, -0.5, v32 :: v_dual_sub_f32 v32, v104, v106
	s_delay_alu instid0(VALU_DEP_1) | instskip(SKIP_2) | instid1(VALU_DEP_1)
	v_fmamk_f32 v45, v32, 0xbf5db3d7, v43
	v_fmac_f32_e32 v43, 0x3f5db3d7, v32
	v_and_b32_e32 v32, 0xffff, v75
	v_mul_u32_u24_e32 v32, 9, v32
	s_delay_alu instid0(VALU_DEP_1) | instskip(SKIP_4) | instid1(VALU_DEP_1)
	v_add_lshl_u32 v32, v32, v76, 3
	scratch_store_b32 off, v32, off offset:312 ; 4-byte Folded Spill
	ds_store_2addr_b64 v32, v[26:27], v[30:31] offset1:3
	ds_store_b64 v32, v[24:25] offset:48
	v_and_b32_e32 v24, 0xffff, v80
	v_mul_u32_u24_e32 v24, 9, v24
	s_delay_alu instid0(VALU_DEP_1) | instskip(SKIP_4) | instid1(VALU_DEP_1)
	v_add_lshl_u32 v24, v24, v81, 3
	scratch_store_b32 off, v24, off offset:308 ; 4-byte Folded Spill
	ds_store_2addr_b64 v24, v[28:29], v[66:67] offset1:3
	ds_store_b64 v24, v[58:59] offset:48
	v_mad_u16 v24, v82, 9, v83
	v_and_b32_e32 v24, 0xffff, v24
	s_delay_alu instid0(VALU_DEP_1) | instskip(SKIP_4) | instid1(VALU_DEP_1)
	v_lshlrev_b32_e32 v24, 3, v24
	scratch_store_b32 off, v24, off offset:304 ; 4-byte Folded Spill
	ds_store_2addr_b64 v24, v[20:21], v[22:23] offset1:3
	ds_store_b64 v24, v[18:19] offset:48
	v_mad_u16 v18, v84, 9, v85
	v_and_b32_e32 v18, 0xffff, v18
	s_delay_alu instid0(VALU_DEP_1) | instskip(SKIP_4) | instid1(VALU_DEP_1)
	v_lshlrev_b32_e32 v18, 3, v18
	scratch_store_b32 off, v18, off offset:300 ; 4-byte Folded Spill
	ds_store_2addr_b64 v18, v[14:15], v[16:17] offset1:3
	ds_store_b64 v18, v[54:55] offset:48
	v_mad_u16 v14, v86, 9, v87
	v_and_b32_e32 v14, 0xffff, v14
	s_delay_alu instid0(VALU_DEP_1) | instskip(SKIP_4) | instid1(VALU_DEP_1)
	v_lshlrev_b32_e32 v14, 3, v14
	scratch_store_b32 off, v14, off offset:296 ; 4-byte Folded Spill
	ds_store_2addr_b64 v14, v[10:11], v[12:13] offset1:3
	ds_store_b64 v14, v[8:9] offset:48
	v_mad_u16 v8, v88, 9, v89
	v_and_b32_e32 v8, 0xffff, v8
	s_delay_alu instid0(VALU_DEP_1)
	v_lshlrev_b32_e32 v8, 3, v8
	scratch_store_b32 off, v8, off offset:292 ; 4-byte Folded Spill
	ds_store_2addr_b64 v8, v[4:5], v[6:7] offset1:3
	ds_store_b64 v8, v[50:51] offset:48
	v_mad_u16 v4, v73, 9, v72
	v_dual_mov_b32 v51, v116 :: v_dual_mov_b32 v50, v111
	s_delay_alu instid0(VALU_DEP_1) | instskip(NEXT) | instid1(VALU_DEP_1)
	v_dual_mov_b32 v191, v51 :: v_dual_and_b32 v4, 0xffff, v4
	v_lshlrev_b32_e32 v4, 3, v4
	scratch_store_b32 off, v4, off offset:328 ; 4-byte Folded Spill
	ds_store_2addr_b64 v4, v[0:1], v[2:3] offset1:3
	ds_store_b64 v4, v[64:65] offset:48
	v_mad_u16 v0, v77, 9, v71
	s_delay_alu instid0(VALU_DEP_1) | instskip(NEXT) | instid1(VALU_DEP_1)
	v_and_b32_e32 v0, 0xffff, v0
	v_lshlrev_b32_e32 v0, 3, v0
	scratch_store_b32 off, v0, off offset:324 ; 4-byte Folded Spill
	ds_store_2addr_b64 v0, v[60:61], v[62:63] offset1:3
	ds_store_b64 v0, v[46:47] offset:48
	v_mad_u16 v0, v78, 9, v70
	v_dual_mov_b32 v47, v120 :: v_dual_mov_b32 v46, v115
	s_delay_alu instid0(VALU_DEP_2) | instskip(NEXT) | instid1(VALU_DEP_1)
	v_and_b32_e32 v0, 0xffff, v0
	v_lshlrev_b32_e32 v0, 3, v0
	scratch_store_b32 off, v0, off offset:320 ; 4-byte Folded Spill
	ds_store_2addr_b64 v0, v[52:53], v[56:57] offset1:3
	ds_store_b64 v0, v[48:49] offset:48
	v_mad_u16 v0, v79, 9, v69
	v_mov_b32_e32 v48, v110
	s_delay_alu instid0(VALU_DEP_2) | instskip(NEXT) | instid1(VALU_DEP_1)
	v_and_b32_e32 v0, 0xffff, v0
	v_lshlrev_b32_e32 v0, 3, v0
	scratch_store_b32 off, v0, off offset:316 ; 4-byte Folded Spill
	ds_store_2addr_b64 v0, v[40:41], v[44:45] offset1:3
	ds_store_b64 v0, v[42:43] offset:48
	v_mul_lo_u16 v0, v74, 57
	global_wb scope:SCOPE_SE
	s_wait_storecnt_dscnt 0x0
	s_barrier_signal -1
	s_barrier_wait -1
	global_inv scope:SCOPE_SE
	v_lshrrev_b16 v4, 9, v0
	ds_load_2addr_b64 v[60:63], v68 offset1:108
	ds_load_2addr_b64 v[56:59], v116 offset0:88 offset1:196
	ds_load_2addr_b64 v[24:27], v117 offset0:136 offset1:244
	;; [unrolled: 1-line block ×4, first 2 shown]
	v_mul_lo_u16 v0, v4, 9
	ds_load_2addr_b64 v[116:119], v109 offset0:104 offset1:212
	v_mov_b32_e32 v43, v109
	ds_load_2addr_b64 v[32:35], v108 offset0:24 offset1:132
	ds_load_2addr_b64 v[108:111], v114 offset0:112 offset1:220
	v_sub_nc_u16 v0, v176, v0
	v_mov_b32_e32 v45, v114
	ds_load_2addr_b64 v[64:67], v112 offset0:32 offset1:140
	v_mov_b32_e32 v42, v112
	ds_load_2addr_b64 v[100:103], v120 offset0:120 offset1:228
	v_and_b32_e32 v5, 0xff, v0
	ds_load_2addr_b64 v[128:131], v113 offset0:48 offset1:156
	v_mov_b32_e32 v44, v113
	ds_load_2addr_b64 v[120:123], v115 offset0:56 offset1:164
	ds_load_2addr_b64 v[112:115], v134 offset0:64 offset1:172
	v_mad_co_u64_u32 v[0:1], null, 0x48, v5, s[6:7]
	ds_load_2addr_b64 v[104:107], v133 offset0:72 offset1:180
	ds_load_2addr_b64 v[96:99], v132 offset0:80 offset1:188
	s_clause 0x3
	global_load_b128 v[222:225], v[0:1], off offset:96
	global_load_b128 v[218:221], v[0:1], off offset:80
	;; [unrolled: 1-line block ×4, first 2 shown]
	v_and_b32_e32 v4, 0xffff, v4
	s_delay_alu instid0(VALU_DEP_1) | instskip(NEXT) | instid1(VALU_DEP_1)
	v_mul_u32_u24_e32 v4, 0x5a, v4
	v_add_lshl_u32 v4, v4, v5, 3
	s_wait_loadcnt_dscnt 0x307
	v_mul_f32_e32 v11, v110, v223
	s_wait_loadcnt 0x2
	v_mul_f32_e32 v21, v32, v221
	s_wait_loadcnt 0x1
	v_mul_f32_e32 v18, v28, v213
	s_wait_loadcnt 0x0
	v_mul_f32_e32 v2, v59, v53
	v_dual_mul_f32 v16, v24, v55 :: v_dual_mul_f32 v7, v58, v53
	v_fmac_f32_e32 v21, v33, v220
	v_fmac_f32_e32 v18, v29, v212
	s_delay_alu instid0(VALU_DEP_4)
	v_fma_f32 v6, v58, v52, -v2
	v_mul_f32_e32 v2, v25, v55
	v_dual_fmac_f32 v16, v25, v54 :: v_dual_fmac_f32 v7, v59, v52
	v_fmac_f32_e32 v11, v111, v222
	s_wait_dscnt 0x6
	v_mul_f32_e32 v23, v64, v225
	v_fma_f32 v20, v24, v54, -v2
	v_mul_f32_e32 v2, v127, v211
	v_mul_f32_e32 v9, v118, v219
	s_delay_alu instid0(VALU_DEP_4) | instskip(NEXT) | instid1(VALU_DEP_3)
	v_fmac_f32_e32 v23, v65, v224
	v_fma_f32 v10, v126, v210, -v2
	s_delay_alu instid0(VALU_DEP_3) | instskip(NEXT) | instid1(VALU_DEP_1)
	v_dual_mul_f32 v2, v29, v213 :: v_dual_fmac_f32 v9, v119, v218
	v_fma_f32 v22, v28, v212, -v2
	v_mul_f32_e32 v2, v119, v219
	s_delay_alu instid0(VALU_DEP_1) | instskip(SKIP_1) | instid1(VALU_DEP_1)
	v_fma_f32 v12, v118, v218, -v2
	v_mul_f32_e32 v2, v33, v221
	v_fma_f32 v24, v32, v220, -v2
	v_mul_f32_e32 v2, v111, v223
	s_delay_alu instid0(VALU_DEP_1) | instskip(SKIP_1) | instid1(VALU_DEP_1)
	v_fma_f32 v14, v110, v222, -v2
	v_mul_f32_e32 v2, v65, v225
	v_fma_f32 v25, v64, v224, -v2
	global_load_b64 v[1:2], v[0:1], off offset:112
	s_wait_loadcnt_dscnt 0x5
	v_mul_f32_e32 v0, v103, v2
	scratch_store_b64 off, v[1:2], off offset:332 ; 8-byte Folded Spill
	v_mul_f32_e32 v13, v102, v2
	v_fma_f32 v15, v102, v1, -v0
	v_mul_lo_u16 v0, v164, 57
	s_delay_alu instid0(VALU_DEP_3) | instskip(NEXT) | instid1(VALU_DEP_2)
	v_fmac_f32_e32 v13, v103, v1
	v_lshrrev_b16 v2, 9, v0
	s_delay_alu instid0(VALU_DEP_1) | instskip(SKIP_1) | instid1(VALU_DEP_2)
	v_mul_lo_u16 v0, v2, 9
	v_and_b32_e32 v2, 0xffff, v2
	v_sub_nc_u16 v0, v163, v0
	s_delay_alu instid0(VALU_DEP_2) | instskip(NEXT) | instid1(VALU_DEP_2)
	v_mul_u32_u24_e32 v2, 0x5a, v2
	v_and_b32_e32 v3, 0xff, v0
	s_delay_alu instid0(VALU_DEP_1)
	v_mad_co_u64_u32 v[0:1], null, 0x48, v3, s[6:7]
	s_clause 0x3
	global_load_b128 v[80:83], v[0:1], off offset:96
	global_load_b128 v[84:87], v[0:1], off offset:80
	;; [unrolled: 1-line block ×4, first 2 shown]
	v_add_lshl_u32 v2, v2, v3, 3
	s_wait_loadcnt_dscnt 0x301
	v_mul_f32_e32 v59, v104, v81
	s_wait_loadcnt 0x2
	v_mul_f32_e32 v111, v34, v87
	s_wait_loadcnt 0x1
	;; [unrolled: 2-line block ×3, first 2 shown]
	v_dual_mul_f32 v28, v27, v95 :: v_dual_mul_f32 v19, v128, v93
	v_fmac_f32_e32 v59, v105, v80
	v_fmac_f32_e32 v111, v35, v86
	;; [unrolled: 1-line block ×3, first 2 shown]
	s_delay_alu instid0(VALU_DEP_4)
	v_fma_f32 v69, v26, v94, -v28
	v_mul_f32_e32 v28, v31, v91
	global_load_b64 v[31:32], v[0:1], off offset:112
	v_mul_f32_e32 v17, v129, v93
	v_fmac_f32_e32 v19, v129, v92
	v_fma_f32 v110, v30, v90, -v28
	v_mul_f32_e32 v28, v113, v85
	v_mul_f32_e32 v30, v35, v87
	v_fma_f32 v17, v128, v92, -v17
	s_delay_alu instid0(VALU_DEP_3) | instskip(SKIP_1) | instid1(VALU_DEP_4)
	v_fma_f32 v29, v112, v84, -v28
	v_mul_f32_e32 v28, v112, v85
	v_fma_f32 v112, v34, v86, -v30
	v_dual_mul_f32 v30, v105, v81 :: v_dual_mul_f32 v105, v66, v83
	s_delay_alu instid0(VALU_DEP_1) | instskip(SKIP_1) | instid1(VALU_DEP_3)
	v_fma_f32 v70, v104, v80, -v30
	v_mul_f32_e32 v30, v67, v83
	v_fmac_f32_e32 v105, v67, v82
	s_delay_alu instid0(VALU_DEP_2)
	v_fma_f32 v30, v66, v82, -v30
	s_wait_loadcnt_dscnt 0x0
	v_mul_f32_e32 v0, v97, v32
	v_mul_f32_e32 v103, v96, v32
	scratch_store_b64 off, v[31:32], off offset:340 ; 8-byte Folded Spill
	v_fma_f32 v104, v96, v31, -v0
	v_mul_u32_u24_e32 v0, 0xe38f, v167
	v_fmac_f32_e32 v103, v97, v31
	s_delay_alu instid0(VALU_DEP_2) | instskip(NEXT) | instid1(VALU_DEP_1)
	v_lshrrev_b32_e32 v0, 19, v0
	v_mul_lo_u16 v1, v0, 9
	s_delay_alu instid0(VALU_DEP_1) | instskip(NEXT) | instid1(VALU_DEP_1)
	v_sub_nc_u16 v1, v162, v1
	v_mul_lo_u16 v31, 0x48, v1
	v_mad_u16 v0, 0x5a, v0, v1
	s_delay_alu instid0(VALU_DEP_2) | instskip(NEXT) | instid1(VALU_DEP_2)
	v_and_b32_e32 v31, 0xffff, v31
	v_and_b32_e32 v0, 0xffff, v0
	s_delay_alu instid0(VALU_DEP_2)
	v_add_co_u32 v33, s8, s6, v31
	s_wait_alu 0xf1ff
	v_add_co_ci_u32_e64 v34, null, s7, 0, s8
	s_clause 0x4
	global_load_b128 v[64:67], v[33:34], off offset:96
	global_load_b128 v[252:255], v[33:34], off offset:80
	;; [unrolled: 1-line block ×4, first 2 shown]
	global_load_b64 v[40:41], v[33:34], off offset:112
	s_wait_loadcnt 0x3
	v_dual_mul_f32 v149, v108, v255 :: v_dual_lshlrev_b32 v0, 3, v0
	v_mul_f32_e32 v39, v115, v253
	v_mul_f32_e32 v97, v114, v253
	s_wait_loadcnt 0x0
	v_mul_f32_e32 v34, v98, v41
	v_mul_f32_e32 v33, v99, v41
	v_fmac_f32_e32 v149, v109, v254
	v_fma_f32 v39, v114, v252, -v39
	v_sub_f32_e32 v114, v25, v24
	v_fmac_f32_e32 v34, v99, v40
	v_fmac_f32_e32 v28, v113, v84
	v_mul_f32_e32 v113, v109, v255
	v_add_f32_e32 v99, v22, v24
	v_sub_f32_e32 v109, v18, v21
	v_fma_f32 v33, v98, v40, -v33
	v_add_f32_e32 v98, v60, v20
	v_fma_f32 v148, v108, v254, -v113
	v_mul_f32_e32 v108, v107, v65
	v_fma_f32 v99, -0.5, v99, v60
	v_sub_f32_e32 v113, v20, v22
	v_dual_fmac_f32 v97, v115, v252 :: v_dual_add_f32 v98, v98, v22
	s_delay_alu instid0(VALU_DEP_4) | instskip(NEXT) | instid1(VALU_DEP_3)
	v_fma_f32 v150, v106, v64, -v108
	v_dual_mul_f32 v106, v106, v65 :: v_dual_add_f32 v113, v113, v114
	v_dual_sub_f32 v114, v22, v20 :: v_dual_sub_f32 v115, v24, v25
	s_delay_alu instid0(VALU_DEP_4) | instskip(NEXT) | instid1(VALU_DEP_3)
	v_add_f32_e32 v98, v98, v24
	v_dual_fmac_f32 v106, v107, v64 :: v_dual_mul_f32 v107, v101, v67
	v_sub_f32_e32 v22, v22, v24
	s_delay_alu instid0(VALU_DEP_4) | instskip(NEXT) | instid1(VALU_DEP_4)
	v_add_f32_e32 v114, v114, v115
	v_add_f32_e32 v98, v98, v25
	v_sub_f32_e32 v24, v16, v18
	v_fma_f32 v107, v100, v66, -v107
	v_mul_f32_e32 v100, v100, v67
	v_mul_f32_e32 v8, v126, v211
	v_sub_f32_e32 v115, v14, v15
	v_mul_f32_e32 v31, v131, v77
	scratch_store_b64 off, v[40:41], off offset:472 ; 8-byte Folded Spill
	v_dual_fmac_f32 v100, v101, v66 :: v_dual_sub_f32 v101, v16, v23
	v_fmac_f32_e32 v8, v127, v210
	v_fma_f32 v71, v130, v76, -v31
	v_mul_f32_e32 v31, v125, v79
	v_mov_b32_e32 v41, v45
	v_fmamk_f32 v108, v101, 0x3f737871, v99
	v_fmac_f32_e32 v99, 0xbf737871, v101
	v_mul_f32_e32 v37, v117, v75
	v_fma_f32 v35, v124, v78, -v31
	v_mul_f32_e32 v31, v123, v73
	v_fmac_f32_e32 v108, 0x3f167918, v109
	v_dual_fmac_f32 v99, 0xbf167918, v109 :: v_dual_mov_b32 v170, v132
	v_mul_f32_e32 v36, v124, v79
	s_delay_alu instid0(VALU_DEP_4) | instskip(NEXT) | instid1(VALU_DEP_4)
	v_fma_f32 v32, v122, v72, -v31
	v_fmac_f32_e32 v108, 0x3e9e377a, v113
	s_delay_alu instid0(VALU_DEP_4)
	v_fmac_f32_e32 v99, 0x3e9e377a, v113
	v_add_f32_e32 v113, v20, v25
	v_sub_f32_e32 v20, v20, v25
	v_mul_f32_e32 v58, v26, v95
	v_mul_f32_e32 v31, v122, v73
	v_fma_f32 v37, v116, v74, -v37
	v_fma_f32 v60, -0.5, v113, v60
	v_fmac_f32_e32 v36, v125, v78
	v_fmac_f32_e32 v58, v27, v94
	v_dual_fmac_f32 v31, v123, v72 :: v_dual_mul_f32 v96, v130, v77
	s_delay_alu instid0(VALU_DEP_4) | instskip(SKIP_2) | instid1(VALU_DEP_3)
	v_fmamk_f32 v113, v109, 0xbf737871, v60
	v_fmac_f32_e32 v60, 0x3f737871, v109
	v_dual_add_f32 v109, v18, v21 :: v_dual_mul_f32 v38, v116, v75
	v_dual_fmac_f32 v96, v131, v76 :: v_dual_fmac_f32 v113, 0x3f167918, v101
	s_delay_alu instid0(VALU_DEP_3) | instskip(NEXT) | instid1(VALU_DEP_3)
	v_fmac_f32_e32 v60, 0xbf167918, v101
	v_fma_f32 v109, -0.5, v109, v61
	v_add_f32_e32 v101, v61, v16
	s_delay_alu instid0(VALU_DEP_4) | instskip(NEXT) | instid1(VALU_DEP_4)
	v_dual_mul_f32 v26, v121, v89 :: v_dual_fmac_f32 v113, 0x3e9e377a, v114
	v_fmac_f32_e32 v60, 0x3e9e377a, v114
	s_delay_alu instid0(VALU_DEP_4) | instskip(SKIP_3) | instid1(VALU_DEP_4)
	v_dual_fmamk_f32 v25, v20, 0xbf737871, v109 :: v_dual_sub_f32 v114, v23, v21
	v_fmac_f32_e32 v109, 0x3f737871, v20
	v_add_f32_e32 v101, v101, v18
	v_fma_f32 v27, v120, v88, -v26
	v_fmac_f32_e32 v25, 0xbf167918, v22
	v_add_f32_e32 v24, v24, v114
	v_fmac_f32_e32 v109, 0x3f167918, v22
	v_dual_add_f32 v101, v101, v21 :: v_dual_sub_f32 v114, v15, v14
	s_delay_alu instid0(VALU_DEP_3) | instskip(NEXT) | instid1(VALU_DEP_3)
	v_dual_mul_f32 v26, v120, v89 :: v_dual_fmac_f32 v25, 0x3e9e377a, v24
	v_dual_fmac_f32 v109, 0x3e9e377a, v24 :: v_dual_add_f32 v24, v16, v23
	v_sub_f32_e32 v16, v18, v16
	v_sub_f32_e32 v18, v21, v23
	v_add_f32_e32 v101, v101, v23
	v_sub_f32_e32 v23, v10, v12
	v_fma_f32 v24, -0.5, v24, v61
	v_fmac_f32_e32 v26, v121, v88
	v_add_f32_e32 v16, v16, v18
	v_add_f32_e32 v18, v12, v14
	;; [unrolled: 1-line block ×3, first 2 shown]
	v_fmamk_f32 v61, v22, 0x3f737871, v24
	v_fmac_f32_e32 v24, 0xbf737871, v22
	v_sub_f32_e32 v22, v9, v11
	v_fma_f32 v18, -0.5, v18, v6
	s_delay_alu instid0(VALU_DEP_4) | instskip(NEXT) | instid1(VALU_DEP_4)
	v_dual_sub_f32 v114, v12, v10 :: v_dual_fmac_f32 v61, 0xbf167918, v20
	v_fmac_f32_e32 v24, 0x3f167918, v20
	v_sub_f32_e32 v20, v8, v13
	v_fmac_f32_e32 v38, v117, v74
	s_delay_alu instid0(VALU_DEP_4) | instskip(NEXT) | instid1(VALU_DEP_4)
	v_dual_add_f32 v114, v114, v115 :: v_dual_fmac_f32 v61, 0x3e9e377a, v16
	v_fmac_f32_e32 v24, 0x3e9e377a, v16
	s_delay_alu instid0(VALU_DEP_4)
	v_fmamk_f32 v21, v20, 0x3f737871, v18
	v_fmac_f32_e32 v18, 0xbf737871, v20
	v_add_f32_e32 v16, v6, v10
	global_wb scope:SCOPE_SE
	s_wait_storecnt 0x0
	s_barrier_signal -1
	v_fmac_f32_e32 v21, 0x3f167918, v22
	v_fmac_f32_e32 v18, 0xbf167918, v22
	v_add_f32_e32 v16, v16, v12
	v_sub_f32_e32 v12, v12, v14
	s_barrier_wait -1
	v_fmac_f32_e32 v21, 0x3e9e377a, v23
	v_fmac_f32_e32 v18, 0x3e9e377a, v23
	v_dual_add_f32 v23, v10, v15 :: v_dual_add_f32 v16, v16, v14
	v_sub_f32_e32 v10, v10, v15
	v_sub_f32_e32 v14, v8, v9
	global_inv scope:SCOPE_SE
	v_fmac_f32_e32 v6, -0.5, v23
	v_add_f32_e32 v16, v16, v15
	scratch_store_b32 off, v4, off offset:400 ; 4-byte Folded Spill
	v_dual_mov_b32 v40, v168 :: v_dual_fmamk_f32 v23, v22, 0xbf737871, v6
	v_fmac_f32_e32 v6, 0x3f737871, v22
	v_add_f32_e32 v22, v9, v11
	v_add_f32_e32 v144, v98, v16
	v_sub_f32_e32 v138, v98, v16
	v_fmac_f32_e32 v23, 0x3f167918, v20
	v_fmac_f32_e32 v6, 0xbf167918, v20
	v_fma_f32 v22, -0.5, v22, v7
	v_add_f32_e32 v20, v7, v8
	v_sub_f32_e32 v16, v58, v102
	v_fmac_f32_e32 v23, 0x3e9e377a, v114
	v_fmac_f32_e32 v6, 0x3e9e377a, v114
	v_dual_fmamk_f32 v15, v10, 0xbf737871, v22 :: v_dual_sub_f32 v114, v13, v11
	v_fmac_f32_e32 v22, 0x3f737871, v10
	s_delay_alu instid0(VALU_DEP_2) | instskip(NEXT) | instid1(VALU_DEP_3)
	v_dual_add_f32 v20, v20, v9 :: v_dual_fmac_f32 v15, 0xbf167918, v12
	v_add_f32_e32 v14, v14, v114
	s_delay_alu instid0(VALU_DEP_3) | instskip(NEXT) | instid1(VALU_DEP_2)
	v_fmac_f32_e32 v22, 0x3f167918, v12
	v_dual_add_f32 v20, v20, v11 :: v_dual_fmac_f32 v15, 0x3e9e377a, v14
	s_delay_alu instid0(VALU_DEP_2) | instskip(SKIP_2) | instid1(VALU_DEP_4)
	v_fmac_f32_e32 v22, 0x3e9e377a, v14
	v_add_f32_e32 v14, v8, v13
	v_dual_sub_f32 v8, v9, v8 :: v_dual_sub_f32 v9, v11, v13
	v_dual_mul_f32 v11, 0xbf4f1bbd, v18 :: v_dual_add_f32 v20, v20, v13
	s_delay_alu instid0(VALU_DEP_3) | instskip(NEXT) | instid1(VALU_DEP_3)
	v_fmac_f32_e32 v7, -0.5, v14
	v_dual_mul_f32 v13, 0xbf737871, v23 :: v_dual_add_f32 v8, v8, v9
	s_delay_alu instid0(VALU_DEP_3) | instskip(NEXT) | instid1(VALU_DEP_3)
	v_fmac_f32_e32 v11, 0x3f167918, v22
	v_dual_add_f32 v145, v101, v20 :: v_dual_fmamk_f32 v14, v12, 0x3f737871, v7
	v_fmac_f32_e32 v7, 0xbf737871, v12
	v_mul_f32_e32 v12, 0xbf167918, v21
	s_delay_alu instid0(VALU_DEP_4)
	v_add_f32_e32 v136, v99, v11
	v_sub_f32_e32 v130, v99, v11
	v_fmac_f32_e32 v14, 0xbf167918, v10
	v_fmac_f32_e32 v7, 0x3f167918, v10
	v_mul_f32_e32 v10, 0xbe9e377a, v6
	v_dual_fmac_f32 v12, 0x3f4f1bbd, v15 :: v_dual_sub_f32 v11, v69, v110
	s_delay_alu instid0(VALU_DEP_4) | instskip(NEXT) | instid1(VALU_DEP_4)
	v_fmac_f32_e32 v14, 0x3e9e377a, v8
	v_fmac_f32_e32 v7, 0x3e9e377a, v8
	s_delay_alu instid0(VALU_DEP_3) | instskip(SKIP_1) | instid1(VALU_DEP_3)
	v_dual_mul_f32 v8, 0x3f167918, v15 :: v_dual_add_f32 v147, v25, v12
	v_sub_f32_e32 v133, v25, v12
	v_dual_mul_f32 v9, 0x3f737871, v14 :: v_dual_fmac_f32 v10, 0x3f737871, v7
	v_mul_f32_e32 v7, 0xbe9e377a, v7
	s_delay_alu instid0(VALU_DEP_4) | instskip(NEXT) | instid1(VALU_DEP_3)
	v_fmac_f32_e32 v8, 0x3f4f1bbd, v21
	v_dual_sub_f32 v12, v30, v112 :: v_dual_fmac_f32 v9, 0x3e9e377a, v23
	s_delay_alu instid0(VALU_DEP_4) | instskip(NEXT) | instid1(VALU_DEP_3)
	v_add_f32_e32 v142, v60, v10
	v_dual_fmac_f32 v7, 0xbf737871, v6 :: v_dual_add_f32 v146, v108, v8
	v_sub_f32_e32 v132, v108, v8
	v_sub_f32_e32 v8, v58, v105
	s_delay_alu instid0(VALU_DEP_3) | instskip(SKIP_4) | instid1(VALU_DEP_3)
	v_dual_add_f32 v140, v113, v9 :: v_dual_add_f32 v143, v24, v7
	v_sub_f32_e32 v129, v24, v7
	v_dual_add_f32 v7, v110, v112 :: v_dual_sub_f32 v134, v113, v9
	v_sub_f32_e32 v128, v60, v10
	v_dual_sub_f32 v10, v102, v111 :: v_dual_add_f32 v11, v11, v12
	v_fma_f32 v7, -0.5, v7, v62
	v_fmac_f32_e32 v13, 0x3e9e377a, v14
	v_sub_f32_e32 v14, v112, v30
	v_dual_mul_f32 v6, 0xbf4f1bbd, v22 :: v_dual_sub_f32 v15, v110, v112
	s_delay_alu instid0(VALU_DEP_4)
	v_fmamk_f32 v9, v8, 0x3f737871, v7
	v_fmac_f32_e32 v7, 0xbf737871, v8
	v_add_f32_e32 v141, v61, v13
	v_sub_f32_e32 v135, v61, v13
	v_sub_f32_e32 v13, v110, v69
	v_fmac_f32_e32 v9, 0x3f167918, v10
	v_fmac_f32_e32 v7, 0xbf167918, v10
	;; [unrolled: 1-line block ×3, first 2 shown]
	v_sub_f32_e32 v18, v105, v111
	v_add_f32_e32 v13, v13, v14
	v_fmac_f32_e32 v9, 0x3e9e377a, v11
	v_fmac_f32_e32 v7, 0x3e9e377a, v11
	v_add_f32_e32 v11, v69, v30
	v_dual_add_f32 v16, v16, v18 :: v_dual_sub_f32 v139, v101, v20
	v_sub_f32_e32 v18, v102, v58
	v_sub_f32_e32 v20, v111, v105
	s_delay_alu instid0(VALU_DEP_4) | instskip(SKIP_1) | instid1(VALU_DEP_3)
	v_fma_f32 v11, -0.5, v11, v62
	v_dual_sub_f32 v21, v28, v59 :: v_dual_sub_f32 v22, v27, v29
	v_dual_sub_f32 v23, v104, v70 :: v_dual_add_f32 v18, v18, v20
	s_delay_alu instid0(VALU_DEP_3) | instskip(SKIP_1) | instid1(VALU_DEP_3)
	v_fmamk_f32 v12, v10, 0xbf737871, v11
	v_dual_fmac_f32 v11, 0x3f737871, v10 :: v_dual_add_f32 v10, v102, v111
	v_add_f32_e32 v22, v22, v23
	s_delay_alu instid0(VALU_DEP_3) | instskip(NEXT) | instid1(VALU_DEP_3)
	v_dual_sub_f32 v23, v29, v27 :: v_dual_fmac_f32 v12, 0x3f167918, v8
	v_fmac_f32_e32 v11, 0xbf167918, v8
	s_delay_alu instid0(VALU_DEP_4)
	v_fma_f32 v10, -0.5, v10, v63
	v_add_f32_e32 v8, v63, v58
	v_sub_f32_e32 v24, v70, v104
	v_fmac_f32_e32 v12, 0x3e9e377a, v13
	v_fmac_f32_e32 v11, 0x3e9e377a, v13
	v_sub_f32_e32 v13, v69, v30
	v_sub_f32_e32 v25, v29, v70
	v_add_f32_e32 v23, v23, v24
	v_add_f32_e32 v137, v109, v6
	v_sub_f32_e32 v131, v109, v6
	v_fmamk_f32 v14, v13, 0xbf737871, v10
	v_fmac_f32_e32 v10, 0x3f737871, v13
	v_add_f32_e32 v6, v62, v69
	v_add_f32_e32 v8, v8, v102
	ds_store_2addr_b64 v4, v[144:145], v[146:147] offset1:9
	ds_store_2addr_b64 v4, v[140:141], v[142:143] offset0:18 offset1:27
	ds_store_2addr_b64 v4, v[136:137], v[138:139] offset0:36 offset1:45
	;; [unrolled: 1-line block ×4, first 2 shown]
	v_fmac_f32_e32 v14, 0xbf167918, v15
	v_fmac_f32_e32 v10, 0x3f167918, v15
	v_add_f32_e32 v6, v6, v110
	v_add_f32_e32 v8, v8, v111
	scratch_store_b32 off, v2, off offset:372 ; 4-byte Folded Spill
	v_fmac_f32_e32 v14, 0x3e9e377a, v16
	v_fmac_f32_e32 v10, 0x3e9e377a, v16
	v_add_f32_e32 v16, v58, v105
	v_add_f32_e32 v6, v6, v112
	s_delay_alu instid0(VALU_DEP_2) | instskip(NEXT) | instid1(VALU_DEP_2)
	v_dual_add_f32 v8, v8, v105 :: v_dual_fmac_f32 v63, -0.5, v16
	v_add_f32_e32 v6, v6, v30
	s_delay_alu instid0(VALU_DEP_2) | instskip(SKIP_1) | instid1(VALU_DEP_2)
	v_fmamk_f32 v16, v15, 0x3f737871, v63
	v_fmac_f32_e32 v63, 0xbf737871, v15
	v_dual_add_f32 v15, v29, v70 :: v_dual_fmac_f32 v16, 0xbf167918, v13
	s_delay_alu instid0(VALU_DEP_2) | instskip(NEXT) | instid1(VALU_DEP_2)
	v_fmac_f32_e32 v63, 0x3f167918, v13
	v_fma_f32 v15, -0.5, v15, v17
	s_delay_alu instid0(VALU_DEP_3) | instskip(NEXT) | instid1(VALU_DEP_3)
	v_dual_add_f32 v13, v17, v27 :: v_dual_fmac_f32 v16, 0x3e9e377a, v18
	v_dual_fmac_f32 v63, 0x3e9e377a, v18 :: v_dual_sub_f32 v18, v26, v103
	s_delay_alu instid0(VALU_DEP_2) | instskip(NEXT) | instid1(VALU_DEP_2)
	v_add_f32_e32 v13, v13, v29
	v_dual_sub_f32 v29, v103, v59 :: v_dual_fmamk_f32 v20, v18, 0x3f737871, v15
	v_fmac_f32_e32 v15, 0xbf737871, v18
	s_delay_alu instid0(VALU_DEP_3) | instskip(NEXT) | instid1(VALU_DEP_3)
	v_dual_add_f32 v13, v13, v70 :: v_dual_mov_b32 v70, v43
	v_fmac_f32_e32 v20, 0x3f167918, v21
	s_delay_alu instid0(VALU_DEP_3) | instskip(NEXT) | instid1(VALU_DEP_2)
	v_fmac_f32_e32 v15, 0xbf167918, v21
	v_dual_add_f32 v13, v13, v104 :: v_dual_fmac_f32 v20, 0x3e9e377a, v22
	s_delay_alu instid0(VALU_DEP_2) | instskip(NEXT) | instid1(VALU_DEP_2)
	v_dual_fmac_f32 v15, 0x3e9e377a, v22 :: v_dual_add_f32 v22, v27, v104
	v_add_f32_e32 v124, v6, v13
	v_dual_sub_f32 v118, v6, v13 :: v_dual_sub_f32 v13, v37, v35
	s_delay_alu instid0(VALU_DEP_3) | instskip(NEXT) | instid1(VALU_DEP_1)
	v_dual_add_f32 v6, v56, v35 :: v_dual_fmac_f32 v17, -0.5, v22
	v_add_f32_e32 v6, v6, v37
	s_delay_alu instid0(VALU_DEP_2) | instskip(SKIP_1) | instid1(VALU_DEP_3)
	v_fmamk_f32 v22, v21, 0xbf737871, v17
	v_fmac_f32_e32 v17, 0x3f737871, v21
	v_dual_add_f32 v21, v28, v59 :: v_dual_add_f32 v6, v6, v148
	s_delay_alu instid0(VALU_DEP_3) | instskip(NEXT) | instid1(VALU_DEP_3)
	v_fmac_f32_e32 v22, 0x3f167918, v18
	v_fmac_f32_e32 v17, 0xbf167918, v18
	s_delay_alu instid0(VALU_DEP_3)
	v_fma_f32 v21, -0.5, v21, v19
	v_add_f32_e32 v18, v19, v26
	v_add_f32_e32 v6, v6, v107
	v_fmac_f32_e32 v22, 0x3e9e377a, v23
	v_fmac_f32_e32 v17, 0x3e9e377a, v23
	v_sub_f32_e32 v23, v27, v104
	v_sub_f32_e32 v27, v26, v28
	v_add_f32_e32 v18, v18, v28
	s_delay_alu instid0(VALU_DEP_3) | instskip(SKIP_1) | instid1(VALU_DEP_3)
	v_fmamk_f32 v24, v23, 0xbf737871, v21
	v_fmac_f32_e32 v21, 0x3f737871, v23
	v_dual_add_f32 v27, v27, v29 :: v_dual_add_f32 v18, v18, v59
	s_delay_alu instid0(VALU_DEP_3) | instskip(NEXT) | instid1(VALU_DEP_2)
	v_fmac_f32_e32 v24, 0xbf167918, v25
	v_dual_fmac_f32 v21, 0x3f167918, v25 :: v_dual_add_f32 v18, v18, v103
	s_delay_alu instid0(VALU_DEP_2) | instskip(NEXT) | instid1(VALU_DEP_2)
	v_fmac_f32_e32 v24, 0x3e9e377a, v27
	v_fmac_f32_e32 v21, 0x3e9e377a, v27
	v_dual_add_f32 v27, v26, v103 :: v_dual_sub_f32 v26, v28, v26
	s_delay_alu instid0(VALU_DEP_4) | instskip(SKIP_1) | instid1(VALU_DEP_3)
	v_dual_sub_f32 v28, v59, v103 :: v_dual_add_f32 v125, v8, v18
	v_sub_f32_e32 v119, v8, v18
	v_dual_fmac_f32 v19, -0.5, v27 :: v_dual_sub_f32 v8, v36, v100
	s_delay_alu instid0(VALU_DEP_3) | instskip(SKIP_2) | instid1(VALU_DEP_4)
	v_add_f32_e32 v26, v26, v28
	v_mul_f32_e32 v28, 0xbf4f1bbd, v15
	v_sub_f32_e32 v18, v149, v100
	v_fmamk_f32 v27, v25, 0x3f737871, v19
	v_fmac_f32_e32 v19, 0xbf737871, v25
	s_delay_alu instid0(VALU_DEP_4) | instskip(NEXT) | instid1(VALU_DEP_3)
	v_fmac_f32_e32 v28, 0x3f167918, v21
	v_fmac_f32_e32 v27, 0xbf167918, v23
	s_delay_alu instid0(VALU_DEP_3) | instskip(SKIP_1) | instid1(VALU_DEP_4)
	v_fmac_f32_e32 v19, 0x3f167918, v23
	v_mul_f32_e32 v23, 0x3f167918, v24
	v_add_f32_e32 v112, v7, v28
	s_delay_alu instid0(VALU_DEP_4) | instskip(NEXT) | instid1(VALU_DEP_4)
	v_dual_sub_f32 v110, v7, v28 :: v_dual_fmac_f32 v27, 0x3e9e377a, v26
	v_fmac_f32_e32 v19, 0x3e9e377a, v26
	v_dual_mul_f32 v26, 0xbe9e377a, v17 :: v_dual_add_f32 v7, v37, v148
	v_fmac_f32_e32 v23, 0x3f4f1bbd, v20
	s_delay_alu instid0(VALU_DEP_4) | instskip(SKIP_1) | instid1(VALU_DEP_4)
	v_mul_f32_e32 v25, 0x3f737871, v27
	v_mul_f32_e32 v20, 0xbf167918, v20
	v_fmac_f32_e32 v26, 0x3f737871, v19
	v_mul_f32_e32 v19, 0xbe9e377a, v19
	v_fma_f32 v7, -0.5, v7, v56
	v_dual_fmac_f32 v25, 0x3e9e377a, v22 :: v_dual_add_f32 v126, v9, v23
	s_delay_alu instid0(VALU_DEP_3) | instskip(SKIP_1) | instid1(VALU_DEP_3)
	v_dual_add_f32 v122, v11, v26 :: v_dual_fmac_f32 v19, 0xbf737871, v17
	v_mul_f32_e32 v17, 0xbf4f1bbd, v21
	v_add_f32_e32 v120, v12, v25
	v_sub_f32_e32 v114, v9, v23
	v_sub_f32_e32 v116, v12, v25
	s_delay_alu instid0(VALU_DEP_4)
	v_dual_sub_f32 v108, v11, v26 :: v_dual_fmac_f32 v17, 0xbf167918, v15
	v_fmamk_f32 v9, v8, 0x3f737871, v7
	v_sub_f32_e32 v11, v35, v37
	v_sub_f32_e32 v12, v107, v148
	v_fmac_f32_e32 v7, 0xbf737871, v8
	v_add_f32_e32 v113, v10, v17
	v_sub_f32_e32 v111, v10, v17
	s_delay_alu instid0(VALU_DEP_4) | instskip(SKIP_2) | instid1(VALU_DEP_3)
	v_dual_sub_f32 v10, v38, v149 :: v_dual_add_f32 v11, v11, v12
	v_fmac_f32_e32 v20, 0x3f4f1bbd, v24
	v_dual_mul_f32 v22, 0xbf737871, v22 :: v_dual_sub_f32 v15, v37, v148
	v_fmac_f32_e32 v9, 0x3f167918, v10
	v_fmac_f32_e32 v7, 0xbf167918, v10
	s_delay_alu instid0(VALU_DEP_4) | instskip(SKIP_1) | instid1(VALU_DEP_4)
	v_add_f32_e32 v127, v14, v20
	v_dual_sub_f32 v115, v14, v20 :: v_dual_sub_f32 v14, v148, v107
	v_fmac_f32_e32 v9, 0x3e9e377a, v11
	s_delay_alu instid0(VALU_DEP_4) | instskip(SKIP_1) | instid1(VALU_DEP_4)
	v_fmac_f32_e32 v7, 0x3e9e377a, v11
	v_add_f32_e32 v11, v35, v107
	v_dual_fmac_f32 v22, 0x3e9e377a, v27 :: v_dual_add_f32 v13, v13, v14
	v_dual_sub_f32 v17, v100, v149 :: v_dual_mov_b32 v190, v50
	s_delay_alu instid0(VALU_DEP_3) | instskip(NEXT) | instid1(VALU_DEP_3)
	v_fma_f32 v11, -0.5, v11, v56
	v_add_f32_e32 v121, v16, v22
	v_sub_f32_e32 v117, v16, v22
	v_dual_sub_f32 v16, v36, v38 :: v_dual_add_f32 v123, v63, v19
	s_delay_alu instid0(VALU_DEP_4) | instskip(SKIP_1) | instid1(VALU_DEP_3)
	v_fmamk_f32 v12, v10, 0xbf737871, v11
	v_dual_fmac_f32 v11, 0x3f737871, v10 :: v_dual_add_f32 v10, v38, v149
	v_dual_add_f32 v16, v16, v17 :: v_dual_sub_f32 v17, v38, v36
	s_delay_alu instid0(VALU_DEP_3) | instskip(NEXT) | instid1(VALU_DEP_3)
	v_fmac_f32_e32 v12, 0x3f167918, v8
	v_fmac_f32_e32 v11, 0xbf167918, v8
	s_delay_alu instid0(VALU_DEP_4) | instskip(SKIP_1) | instid1(VALU_DEP_4)
	v_fma_f32 v10, -0.5, v10, v57
	v_add_f32_e32 v8, v57, v36
	v_dual_add_f32 v17, v17, v18 :: v_dual_fmac_f32 v12, 0x3e9e377a, v13
	s_delay_alu instid0(VALU_DEP_4) | instskip(SKIP_4) | instid1(VALU_DEP_4)
	v_fmac_f32_e32 v11, 0x3e9e377a, v13
	v_sub_f32_e32 v13, v35, v107
	v_sub_f32_e32 v109, v63, v19
	v_dual_sub_f32 v19, v97, v106 :: v_dual_sub_f32 v20, v32, v39
	v_sub_f32_e32 v21, v33, v150
	v_fmamk_f32 v14, v13, 0xbf737871, v10
	v_fmac_f32_e32 v10, 0x3f737871, v13
	v_dual_sub_f32 v22, v150, v33 :: v_dual_sub_f32 v23, v39, v150
	s_delay_alu instid0(VALU_DEP_4) | instskip(NEXT) | instid1(VALU_DEP_4)
	v_add_f32_e32 v20, v20, v21
	v_fmac_f32_e32 v14, 0xbf167918, v15
	s_delay_alu instid0(VALU_DEP_4) | instskip(SKIP_1) | instid1(VALU_DEP_3)
	v_dual_fmac_f32 v10, 0x3f167918, v15 :: v_dual_sub_f32 v21, v39, v32
	v_dual_sub_f32 v24, v31, v97 :: v_dual_sub_f32 v25, v34, v106
	v_fmac_f32_e32 v14, 0x3e9e377a, v16
	s_delay_alu instid0(VALU_DEP_3) | instskip(NEXT) | instid1(VALU_DEP_4)
	v_fmac_f32_e32 v10, 0x3e9e377a, v16
	v_dual_add_f32 v16, v36, v100 :: v_dual_add_f32 v21, v21, v22
	s_delay_alu instid0(VALU_DEP_4) | instskip(NEXT) | instid1(VALU_DEP_2)
	v_dual_add_f32 v24, v24, v25 :: v_dual_sub_f32 v25, v97, v31
	v_dual_sub_f32 v26, v106, v34 :: v_dual_fmac_f32 v57, -0.5, v16
	ds_store_2addr_b64 v2, v[124:125], v[126:127] offset1:9
	ds_store_2addr_b64 v2, v[120:121], v[122:123] offset0:18 offset1:27
	ds_store_2addr_b64 v2, v[112:113], v[118:119] offset0:36 offset1:45
	;; [unrolled: 1-line block ×4, first 2 shown]
	scratch_store_b32 off, v0, off offset:496 ; 4-byte Folded Spill
	v_dual_add_f32 v25, v25, v26 :: v_dual_fmamk_f32 v16, v15, 0x3f737871, v57
	v_fmac_f32_e32 v57, 0xbf737871, v15
	v_add_f32_e32 v15, v39, v150
	v_mov_b32_e32 v49, v46
	s_delay_alu instid0(VALU_DEP_4) | instskip(NEXT) | instid1(VALU_DEP_4)
	v_dual_mov_b32 v69, v42 :: v_dual_fmac_f32 v16, 0xbf167918, v13
	v_fmac_f32_e32 v57, 0x3f167918, v13
	s_delay_alu instid0(VALU_DEP_4) | instskip(NEXT) | instid1(VALU_DEP_3)
	v_fma_f32 v15, -0.5, v15, v71
	v_dual_add_f32 v13, v71, v32 :: v_dual_fmac_f32 v16, 0x3e9e377a, v17
	s_delay_alu instid0(VALU_DEP_3) | instskip(SKIP_1) | instid1(VALU_DEP_3)
	v_fmac_f32_e32 v57, 0x3e9e377a, v17
	v_sub_f32_e32 v17, v31, v34
	v_add_f32_e32 v13, v13, v39
	s_delay_alu instid0(VALU_DEP_2) | instskip(SKIP_1) | instid1(VALU_DEP_2)
	v_fmamk_f32 v18, v17, 0x3f737871, v15
	v_fmac_f32_e32 v15, 0xbf737871, v17
	v_dual_add_f32 v13, v13, v150 :: v_dual_fmac_f32 v18, 0x3f167918, v19
	s_delay_alu instid0(VALU_DEP_2) | instskip(NEXT) | instid1(VALU_DEP_2)
	v_fmac_f32_e32 v15, 0xbf167918, v19
	v_dual_add_f32 v13, v13, v33 :: v_dual_fmac_f32 v18, 0x3e9e377a, v20
	s_delay_alu instid0(VALU_DEP_2) | instskip(NEXT) | instid1(VALU_DEP_2)
	v_dual_fmac_f32 v15, 0x3e9e377a, v20 :: v_dual_add_f32 v20, v32, v33
	v_add_f32_e32 v104, v6, v13
	v_sub_f32_e32 v98, v6, v13
	s_delay_alu instid0(VALU_DEP_3) | instskip(NEXT) | instid1(VALU_DEP_1)
	v_dual_mul_f32 v26, 0xbf4f1bbd, v15 :: v_dual_fmac_f32 v71, -0.5, v20
	v_fmamk_f32 v20, v19, 0xbf737871, v71
	v_fmac_f32_e32 v71, 0x3f737871, v19
	s_delay_alu instid0(VALU_DEP_2) | instskip(NEXT) | instid1(VALU_DEP_2)
	v_dual_add_f32 v19, v97, v106 :: v_dual_fmac_f32 v20, 0x3f167918, v17
	v_fmac_f32_e32 v71, 0xbf167918, v17
	s_delay_alu instid0(VALU_DEP_2) | instskip(NEXT) | instid1(VALU_DEP_3)
	v_fma_f32 v19, -0.5, v19, v96
	v_dual_add_f32 v17, v96, v31 :: v_dual_fmac_f32 v20, 0x3e9e377a, v21
	s_delay_alu instid0(VALU_DEP_3) | instskip(SKIP_1) | instid1(VALU_DEP_3)
	v_fmac_f32_e32 v71, 0x3e9e377a, v21
	v_sub_f32_e32 v21, v32, v33
	v_add_f32_e32 v17, v17, v97
	s_delay_alu instid0(VALU_DEP_2) | instskip(SKIP_1) | instid1(VALU_DEP_2)
	v_fmamk_f32 v22, v21, 0xbf737871, v19
	v_fmac_f32_e32 v19, 0x3f737871, v21
	v_dual_add_f32 v17, v17, v106 :: v_dual_fmac_f32 v22, 0xbf167918, v23
	s_delay_alu instid0(VALU_DEP_2) | instskip(NEXT) | instid1(VALU_DEP_2)
	v_fmac_f32_e32 v19, 0x3f167918, v23
	v_fmac_f32_e32 v22, 0x3e9e377a, v24
	s_delay_alu instid0(VALU_DEP_2) | instskip(NEXT) | instid1(VALU_DEP_1)
	v_fmac_f32_e32 v19, 0x3e9e377a, v24
	v_fmac_f32_e32 v26, 0x3f167918, v19
	s_delay_alu instid0(VALU_DEP_1) | instskip(NEXT) | instid1(VALU_DEP_1)
	v_dual_mul_f32 v19, 0xbf4f1bbd, v19 :: v_dual_add_f32 v60, v7, v26
	v_dual_fmac_f32 v19, 0xbf167918, v15 :: v_dual_sub_f32 v58, v7, v26
	s_delay_alu instid0(VALU_DEP_1) | instskip(SKIP_1) | instid1(VALU_DEP_2)
	v_dual_add_f32 v61, v10, v19 :: v_dual_add_f32 v24, v31, v34
	v_add_f32_e32 v17, v17, v34
	v_dual_sub_f32 v59, v10, v19 :: v_dual_fmac_f32 v96, -0.5, v24
	s_delay_alu instid0(VALU_DEP_1) | instskip(SKIP_1) | instid1(VALU_DEP_2)
	v_fmamk_f32 v24, v23, 0x3f737871, v96
	v_fmac_f32_e32 v96, 0xbf737871, v23
	v_fmac_f32_e32 v24, 0xbf167918, v21
	s_delay_alu instid0(VALU_DEP_2) | instskip(NEXT) | instid1(VALU_DEP_2)
	v_dual_fmac_f32 v96, 0x3f167918, v21 :: v_dual_mul_f32 v21, 0x3f167918, v22
	v_fmac_f32_e32 v24, 0x3e9e377a, v25
	s_delay_alu instid0(VALU_DEP_2) | instskip(NEXT) | instid1(VALU_DEP_3)
	v_fmac_f32_e32 v96, 0x3e9e377a, v25
	v_fmac_f32_e32 v21, 0x3f4f1bbd, v18
	v_dual_mul_f32 v25, 0xbe9e377a, v71 :: v_dual_add_f32 v8, v8, v38
	s_delay_alu instid0(VALU_DEP_4) | instskip(SKIP_1) | instid1(VALU_DEP_3)
	v_mul_f32_e32 v23, 0x3f737871, v24
	v_mul_f32_e32 v18, 0xbf167918, v18
	v_dual_add_f32 v106, v9, v21 :: v_dual_fmac_f32 v25, 0x3f737871, v96
	s_delay_alu instid0(VALU_DEP_3) | instskip(NEXT) | instid1(VALU_DEP_3)
	v_dual_add_f32 v8, v8, v149 :: v_dual_fmac_f32 v23, 0x3e9e377a, v20
	v_fmac_f32_e32 v18, 0x3f4f1bbd, v22
	v_mul_f32_e32 v20, 0xbf737871, v20
	v_mul_f32_e32 v22, 0xbe9e377a, v96
	s_delay_alu instid0(VALU_DEP_4) | instskip(SKIP_3) | instid1(VALU_DEP_4)
	v_add_f32_e32 v8, v8, v100
	v_add_f32_e32 v100, v12, v23
	;; [unrolled: 1-line block ×3, first 2 shown]
	v_fmac_f32_e32 v20, 0x3e9e377a, v24
	v_dual_fmac_f32 v22, 0xbf737871, v71 :: v_dual_add_f32 v105, v8, v17
	v_add_f32_e32 v107, v14, v18
	v_sub_f32_e32 v99, v8, v17
	s_delay_alu instid0(VALU_DEP_4) | instskip(NEXT) | instid1(VALU_DEP_4)
	v_add_f32_e32 v101, v16, v20
	v_add_f32_e32 v103, v57, v22
	v_sub_f32_e32 v62, v9, v21
	v_dual_sub_f32 v96, v12, v23 :: v_dual_sub_f32 v63, v14, v18
	v_dual_sub_f32 v97, v16, v20 :: v_dual_sub_f32 v56, v11, v25
	v_sub_f32_e32 v57, v57, v22
	ds_store_2addr_b64 v0, v[104:105], v[106:107] offset1:9
	ds_store_2addr_b64 v0, v[100:101], v[102:103] offset0:18 offset1:27
	ds_store_2addr_b64 v0, v[60:61], v[98:99] offset0:36 offset1:45
	;; [unrolled: 1-line block ×4, first 2 shown]
	v_add_nc_u32_e32 v0, 0xffffffa6, v168
	global_wb scope:SCOPE_SE
	s_wait_storecnt_dscnt 0x0
	s_barrier_signal -1
	s_barrier_wait -1
	global_inv scope:SCOPE_SE
	s_wait_alu 0xfffd
	v_cndmask_b32_e32 v18, v0, v168, vcc_lo
	ds_load_2addr_b64 v[136:139], v68 offset1:108
	ds_load_2addr_b64 v[128:131], v44 offset0:48 offset1:156
	ds_load_2addr_b64 v[8:11], v46 offset0:56 offset1:164
	ds_load_2addr_b64 v[152:155], v43 offset0:104 offset1:212
	v_mul_i32_i24_e32 v0, 40, v18
	v_mul_hi_i32_i24_e32 v1, 40, v18
	ds_load_2addr_b64 v[12:15], v45 offset0:112 offset1:220
	ds_load_2addr_b64 v[144:147], v42 offset0:32 offset1:140
	;; [unrolled: 1-line block ×3, first 2 shown]
	v_add_co_u32 v0, vcc_lo, s6, v0
	s_wait_alu 0xfffd
	v_add_co_ci_u32_e32 v1, vcc_lo, s7, v1, vcc_lo
	ds_load_2addr_b64 v[32:35], v157 offset0:64 offset1:172
	ds_load_2addr_b64 v[102:105], v47 offset0:120 offset1:228
	scratch_store_b32 off, v40, off offset:248 ; 4-byte Folded Spill
	v_dual_mov_b32 v45, v158 :: v_dual_mov_b32 v46, v157
	ds_load_2addr_b64 v[132:135], v51 offset0:88 offset1:196
	ds_load_2addr_b64 v[122:125], v50 offset0:16 offset1:124
	v_mov_b32_e32 v42, v151
	ds_load_2addr_b64 v[118:121], v151 offset0:72 offset1:180
	ds_load_2addr_b64 v[156:159], v48 offset0:96 offset1:204
	;; [unrolled: 1-line block ×4, first 2 shown]
	s_clause 0x2
	global_load_b64 v[16:17], v[0:1], off offset:728
	global_load_b128 v[56:59], v[0:1], off offset:712
	global_load_b128 v[60:63], v[0:1], off offset:696
	v_dual_mov_b32 v71, v44 :: v_dual_mov_b32 v44, v170
	v_mov_b32_e32 v43, v169
	v_cmp_lt_u16_e64 vcc_lo, 0x59, v176
	v_dual_mov_b32 v50, v48 :: v_dual_mov_b32 v51, v49
	s_wait_loadcnt_dscnt 0x209
	v_dual_mov_b32 v48, v191 :: v_dual_mul_f32 v5, v146, v17
	s_wait_loadcnt 0x1
	v_mul_f32_e32 v3, v13, v59
	s_wait_loadcnt 0x0
	v_mul_f32_e32 v2, v9, v63
	scratch_store_b64 off, v[16:17], off offset:348 ; 8-byte Folded Spill
	v_mul_f32_e32 v1, v130, v61
	v_fmac_f32_e32 v5, v147, v16
	v_fma_f32 v7, v12, v58, -v3
	v_fma_f32 v6, v8, v62, -v2
	v_dual_mul_f32 v8, v8, v63 :: v_dual_mul_f32 v3, v147, v17
	v_mul_f32_e32 v0, v131, v61
	v_fmac_f32_e32 v1, v131, v60
	v_mul_f32_e32 v2, v155, v57
	s_delay_alu instid0(VALU_DEP_4) | instskip(SKIP_2) | instid1(VALU_DEP_4)
	v_dual_fmac_f32 v8, v9, v62 :: v_dual_mul_f32 v9, v12, v59
	v_mul_lo_u16 v12, 0xb7, v164
	v_fma_f32 v3, v146, v16, -v3
	v_fma_f32 v2, v154, v56, -v2
	s_delay_alu instid0(VALU_DEP_4) | instskip(NEXT) | instid1(VALU_DEP_4)
	v_dual_mul_f32 v4, v154, v57 :: v_dual_fmac_f32 v9, v13, v58
	v_lshrrev_b16 v19, 14, v12
	v_fma_f32 v0, v130, v60, -v0
	s_delay_alu instid0(VALU_DEP_3) | instskip(NEXT) | instid1(VALU_DEP_3)
	v_fmac_f32_e32 v4, v155, v56
	v_mul_lo_u16 v12, 0x5a, v19
	s_delay_alu instid0(VALU_DEP_1) | instskip(NEXT) | instid1(VALU_DEP_1)
	v_sub_nc_u16 v12, v163, v12
	v_and_b32_e32 v20, 0xff, v12
	s_delay_alu instid0(VALU_DEP_1)
	v_mad_co_u64_u32 v[12:13], null, v20, 40, s[6:7]
	s_clause 0x2
	global_load_b64 v[16:17], v[12:13], off offset:728
	global_load_b128 v[108:111], v[12:13], off offset:712
	global_load_b128 v[112:115], v[12:13], off offset:696
	s_wait_loadcnt 0x2
	scratch_store_b64 off, v[16:17], off offset:356 ; 8-byte Folded Spill
	s_wait_loadcnt_dscnt 0x107
	v_mul_f32_e32 v24, v32, v109
	s_wait_loadcnt 0x0
	v_mul_f32_e32 v12, v29, v113
	v_mul_f32_e32 v26, v10, v115
	;; [unrolled: 1-line block ×4, first 2 shown]
	v_fmac_f32_e32 v24, v33, v108
	v_fma_f32 v21, v28, v112, -v12
	v_mul_f32_e32 v12, v11, v115
	v_fmac_f32_e32 v22, v29, v112
	s_wait_dscnt 0x6
	v_mul_f32_e32 v28, v102, v17
	v_fmac_f32_e32 v26, v11, v114
	v_fmac_f32_e32 v130, v15, v110
	v_fma_f32 v25, v10, v114, -v12
	v_mul_f32_e32 v10, v33, v109
	v_fmac_f32_e32 v28, v103, v16
	s_delay_alu instid0(VALU_DEP_2) | instskip(SKIP_1) | instid1(VALU_DEP_1)
	v_fma_f32 v23, v32, v108, -v10
	v_mul_f32_e32 v10, v15, v111
	v_fma_f32 v29, v14, v110, -v10
	v_mul_f32_e32 v10, v103, v17
	s_delay_alu instid0(VALU_DEP_1) | instskip(SKIP_1) | instid1(VALU_DEP_1)
	v_fma_f32 v27, v102, v16, -v10
	v_mul_u32_u24_e32 v10, 0x2d83, v167
	v_lshrrev_b32_e32 v16, 20, v10
	s_delay_alu instid0(VALU_DEP_1) | instskip(NEXT) | instid1(VALU_DEP_1)
	v_mul_lo_u16 v10, 0x5a, v16
	v_sub_nc_u16 v17, v162, v10
	s_delay_alu instid0(VALU_DEP_1) | instskip(NEXT) | instid1(VALU_DEP_1)
	v_mul_lo_u16 v10, v17, 40
	v_and_b32_e32 v10, 0xffff, v10
	s_delay_alu instid0(VALU_DEP_1)
	v_add_co_u32 v10, s8, s6, v10
	s_wait_alu 0xf1ff
	v_add_co_ci_u32_e64 v11, null, s7, 0, s8
	s_clause 0x2
	global_load_b64 v[12:13], v[10:11], off offset:728
	global_load_b128 v[96:99], v[10:11], off offset:712
	global_load_b128 v[100:103], v[10:11], off offset:696
	s_wait_loadcnt 0x2
	v_mul_f32_e32 v33, v104, v13
	s_wait_loadcnt 0x1
	v_mul_f32_e32 v154, v34, v97
	s_wait_loadcnt 0x0
	v_mul_f32_e32 v10, v31, v101
	v_mul_f32_e32 v146, v30, v101
	s_wait_dscnt 0x3
	v_mul_f32_e32 v155, v118, v99
	scratch_store_b64 off, v[12:13], off offset:500 ; 8-byte Folded Spill
	v_fmac_f32_e32 v154, v35, v96
	v_fma_f32 v131, v30, v100, -v10
	v_mul_f32_e32 v10, v123, v103
	v_fmac_f32_e32 v155, v119, v98
	v_fmac_f32_e32 v33, v105, v12
	v_dual_fmac_f32 v146, v31, v100 :: v_dual_mul_f32 v31, v122, v103
	s_delay_alu instid0(VALU_DEP_4) | instskip(SKIP_1) | instid1(VALU_DEP_3)
	v_fma_f32 v30, v122, v102, -v10
	v_mul_f32_e32 v10, v35, v97
	v_fmac_f32_e32 v31, v123, v102
	s_delay_alu instid0(VALU_DEP_2) | instskip(SKIP_1) | instid1(VALU_DEP_1)
	v_fma_f32 v147, v34, v96, -v10
	v_mul_f32_e32 v10, v119, v99
	v_fma_f32 v35, v118, v98, -v10
	v_mul_f32_e32 v10, v105, v13
	s_delay_alu instid0(VALU_DEP_1) | instskip(SKIP_1) | instid1(VALU_DEP_1)
	v_fma_f32 v32, v104, v12, -v10
	v_mul_u32_u24_e32 v10, 0x2d83, v166
	v_lshrrev_b32_e32 v14, 20, v10
	s_delay_alu instid0(VALU_DEP_1) | instskip(NEXT) | instid1(VALU_DEP_1)
	v_mul_lo_u16 v10, 0x5a, v14
	v_sub_nc_u16 v15, v160, v10
	s_delay_alu instid0(VALU_DEP_1) | instskip(NEXT) | instid1(VALU_DEP_1)
	v_mul_lo_u16 v10, v15, 40
	v_and_b32_e32 v10, 0xffff, v10
	s_delay_alu instid0(VALU_DEP_1)
	v_add_co_u32 v10, s8, s6, v10
	s_wait_alu 0xf1ff
	v_add_co_ci_u32_e64 v11, null, s7, 0, s8
	s_clause 0x2
	global_load_b64 v[12:13], v[10:11], off offset:728
	global_load_b128 v[104:107], v[10:11], off offset:712
	global_load_b128 v[116:119], v[10:11], off offset:696
	s_wait_loadcnt 0x2
	scratch_store_b64 off, v[12:13], off offset:456 ; 8-byte Folded Spill
	s_wait_loadcnt_dscnt 0x101
	v_mul_f32_e32 v39, v148, v105
	s_wait_loadcnt 0x0
	v_mul_f32_e32 v10, v157, v117
	v_mul_f32_e32 v177, v156, v117
	;; [unrolled: 1-line block ×3, first 2 shown]
	v_fmac_f32_e32 v39, v149, v104
	s_delay_alu instid0(VALU_DEP_4) | instskip(SKIP_3) | instid1(VALU_DEP_3)
	v_fma_f32 v34, v156, v116, -v10
	v_mul_f32_e32 v10, v125, v119
	v_fmac_f32_e32 v177, v157, v116
	v_fmac_f32_e32 v37, v125, v118
	v_fma_f32 v36, v124, v118, -v10
	v_dual_mul_f32 v10, v149, v105 :: v_dual_mul_f32 v149, v120, v107
	s_delay_alu instid0(VALU_DEP_1) | instskip(SKIP_1) | instid1(VALU_DEP_3)
	v_fma_f32 v38, v148, v104, -v10
	v_mul_f32_e32 v10, v121, v107
	v_fmac_f32_e32 v149, v121, v106
	s_delay_alu instid0(VALU_DEP_2) | instskip(SKIP_2) | instid1(VALU_DEP_1)
	v_fma_f32 v148, v120, v106, -v10
	s_wait_dscnt 0x0
	v_mul_f32_e32 v10, v141, v13
	v_fma_f32 v178, v140, v12, -v10
	v_mul_f32_e32 v140, v140, v13
	v_mul_u32_u24_e32 v10, 0x2d83, v165
	s_delay_alu instid0(VALU_DEP_2) | instskip(NEXT) | instid1(VALU_DEP_2)
	v_fmac_f32_e32 v140, v141, v12
	v_lshrrev_b32_e32 v12, 20, v10
	s_delay_alu instid0(VALU_DEP_1) | instskip(NEXT) | instid1(VALU_DEP_1)
	v_mul_lo_u16 v10, 0x5a, v12
	v_sub_nc_u16 v13, v161, v10
	s_delay_alu instid0(VALU_DEP_1) | instskip(NEXT) | instid1(VALU_DEP_1)
	v_mul_lo_u16 v10, v13, 40
	v_and_b32_e32 v10, 0xffff, v10
	s_delay_alu instid0(VALU_DEP_1)
	v_add_co_u32 v10, s8, s6, v10
	s_wait_alu 0xf1ff
	v_add_co_ci_u32_e64 v11, null, s7, 0, s8
	s_clause 0x2
	global_load_b64 v[156:157], v[10:11], off offset:728
	global_load_b128 v[120:123], v[10:11], off offset:712
	global_load_b128 v[124:127], v[10:11], off offset:696
	s_wait_loadcnt 0x2
	v_mul_f32_e32 v188, v142, v157
	s_wait_loadcnt 0x1
	v_mul_f32_e32 v186, v144, v123
	;; [unrolled: 2-line block ×3, first 2 shown]
	v_mul_f32_e32 v184, v150, v121
	v_mul_f32_e32 v180, v158, v125
	v_fmac_f32_e32 v188, v143, v156
	v_fmac_f32_e32 v186, v145, v122
	v_fma_f32 v179, v158, v124, -v10
	v_mul_f32_e32 v10, v153, v127
	scratch_store_b64 off, v[156:157], off offset:416 ; 8-byte Folded Spill
	v_fmac_f32_e32 v180, v159, v124
	v_mul_f32_e32 v182, v152, v127
	v_fmac_f32_e32 v184, v151, v120
	v_fma_f32 v181, v152, v126, -v10
	v_mul_f32_e32 v10, v151, v121
	global_wb scope:SCOPE_SE
	s_wait_storecnt 0x0
	v_fmac_f32_e32 v182, v153, v126
	s_barrier_signal -1
	s_barrier_wait -1
	v_fma_f32 v183, v150, v120, -v10
	v_mul_f32_e32 v10, v145, v123
	global_inv scope:SCOPE_SE
	v_fma_f32 v185, v144, v122, -v10
	v_mul_f32_e32 v10, v143, v157
	s_delay_alu instid0(VALU_DEP_1) | instskip(SKIP_1) | instid1(VALU_DEP_1)
	v_fma_f32 v187, v142, v156, -v10
	v_add_f32_e32 v10, v136, v6
	v_add_f32_e32 v141, v10, v7
	;; [unrolled: 1-line block ×3, first 2 shown]
	v_sub_f32_e32 v6, v6, v7
	v_add_f32_e32 v7, v2, v3
	s_delay_alu instid0(VALU_DEP_3) | instskip(SKIP_1) | instid1(VALU_DEP_1)
	v_fma_f32 v136, -0.5, v10, v136
	v_sub_f32_e32 v10, v8, v9
	v_fmamk_f32 v142, v10, 0x3f5db3d7, v136
	v_fmac_f32_e32 v136, 0xbf5db3d7, v10
	v_add_f32_e32 v10, v137, v8
	v_add_f32_e32 v8, v8, v9
	s_delay_alu instid0(VALU_DEP_2) | instskip(NEXT) | instid1(VALU_DEP_2)
	v_add_f32_e32 v143, v10, v9
	v_fma_f32 v137, -0.5, v8, v137
	s_delay_alu instid0(VALU_DEP_1) | instskip(SKIP_4) | instid1(VALU_DEP_2)
	v_fmamk_f32 v144, v6, 0xbf5db3d7, v137
	v_fmac_f32_e32 v137, 0x3f5db3d7, v6
	v_add_f32_e32 v6, v0, v2
	v_dual_fmac_f32 v0, -0.5, v7 :: v_dual_sub_f32 v7, v4, v5
	v_sub_f32_e32 v2, v2, v3
	v_dual_add_f32 v6, v6, v3 :: v_dual_fmamk_f32 v11, v7, 0x3f5db3d7, v0
	v_dual_fmac_f32 v0, 0xbf5db3d7, v7 :: v_dual_add_f32 v7, v1, v4
	v_add_f32_e32 v4, v4, v5
	s_delay_alu instid0(VALU_DEP_3) | instskip(NEXT) | instid1(VALU_DEP_3)
	v_add_f32_e32 v8, v141, v6
	v_dual_mul_f32 v150, 0xbf5db3d7, v11 :: v_dual_mul_f32 v145, -0.5, v0
	s_delay_alu instid0(VALU_DEP_4) | instskip(NEXT) | instid1(VALU_DEP_4)
	v_add_f32_e32 v7, v7, v5
	v_dual_fmac_f32 v1, -0.5, v4 :: v_dual_sub_f32 v6, v141, v6
	s_delay_alu instid0(VALU_DEP_2) | instskip(NEXT) | instid1(VALU_DEP_2)
	v_add_f32_e32 v9, v143, v7
	v_fmamk_f32 v3, v2, 0xbf5db3d7, v1
	v_fmac_f32_e32 v1, 0x3f5db3d7, v2
	v_sub_f32_e32 v7, v143, v7
	s_delay_alu instid0(VALU_DEP_3) | instskip(NEXT) | instid1(VALU_DEP_3)
	v_mul_f32_e32 v2, 0x3f5db3d7, v3
	v_dual_fmac_f32 v150, 0.5, v3 :: v_dual_mul_f32 v3, -0.5, v1
	s_delay_alu instid0(VALU_DEP_2) | instskip(NEXT) | instid1(VALU_DEP_2)
	v_dual_fmac_f32 v145, 0x3f5db3d7, v1 :: v_dual_fmac_f32 v2, 0.5, v11
	v_add_f32_e32 v11, v144, v150
	s_delay_alu instid0(VALU_DEP_2) | instskip(SKIP_1) | instid1(VALU_DEP_4)
	v_dual_fmac_f32 v3, 0xbf5db3d7, v0 :: v_dual_add_f32 v4, v136, v145
	v_sub_f32_e32 v1, v144, v150
	v_add_f32_e32 v10, v142, v2
	s_delay_alu instid0(VALU_DEP_3)
	v_dual_sub_f32 v0, v142, v2 :: v_dual_add_f32 v5, v137, v3
	v_sub_f32_e32 v3, v137, v3
	v_add_f32_e32 v137, v25, v29
	v_sub_f32_e32 v2, v136, v145
	v_add_f32_e32 v136, v138, v25
	v_sub_f32_e32 v25, v25, v29
	s_delay_alu instid0(VALU_DEP_4) | instskip(SKIP_1) | instid1(VALU_DEP_4)
	v_fma_f32 v137, -0.5, v137, v138
	v_sub_f32_e32 v138, v26, v130
	v_dual_add_f32 v136, v136, v29 :: v_dual_add_f32 v29, v23, v27
	s_delay_alu instid0(VALU_DEP_2) | instskip(SKIP_3) | instid1(VALU_DEP_2)
	v_fmamk_f32 v141, v138, 0x3f5db3d7, v137
	v_fmac_f32_e32 v137, 0xbf5db3d7, v138
	v_add_f32_e32 v138, v139, v26
	v_add_f32_e32 v26, v26, v130
	;; [unrolled: 1-line block ×3, first 2 shown]
	s_delay_alu instid0(VALU_DEP_2) | instskip(NEXT) | instid1(VALU_DEP_1)
	v_fmac_f32_e32 v139, -0.5, v26
	v_fmamk_f32 v26, v25, 0xbf5db3d7, v139
	v_fmac_f32_e32 v139, 0x3f5db3d7, v25
	v_add_f32_e32 v25, v21, v23
	v_fmac_f32_e32 v21, -0.5, v29
	v_sub_f32_e32 v29, v24, v28
	v_sub_f32_e32 v23, v23, v27
	s_delay_alu instid0(VALU_DEP_4) | instskip(NEXT) | instid1(VALU_DEP_3)
	v_add_f32_e32 v25, v25, v27
	v_fmamk_f32 v130, v29, 0x3f5db3d7, v21
	v_fmac_f32_e32 v21, 0xbf5db3d7, v29
	v_add_f32_e32 v29, v22, v24
	v_add_f32_e32 v24, v24, v28
	;; [unrolled: 1-line block ×3, first 2 shown]
	v_sub_f32_e32 v170, v136, v25
	v_mul_f32_e32 v27, -0.5, v21
	v_add_f32_e32 v29, v29, v28
	v_fmac_f32_e32 v22, -0.5, v24
	v_dual_mul_f32 v28, 0xbf5db3d7, v130 :: v_dual_add_f32 v25, v31, v155
	s_delay_alu instid0(VALU_DEP_2) | instskip(SKIP_1) | instid1(VALU_DEP_3)
	v_dual_add_f32 v173, v138, v29 :: v_dual_fmamk_f32 v24, v23, 0xbf5db3d7, v22
	v_fmac_f32_e32 v22, 0x3f5db3d7, v23
	v_fma_f32 v25, -0.5, v25, v133
	s_delay_alu instid0(VALU_DEP_3) | instskip(NEXT) | instid1(VALU_DEP_3)
	v_dual_sub_f32 v171, v138, v29 :: v_dual_fmac_f32 v28, 0.5, v24
	v_fmac_f32_e32 v27, 0x3f5db3d7, v22
	v_dual_mul_f32 v22, -0.5, v22 :: v_dual_mul_f32 v23, 0x3f5db3d7, v24
	s_delay_alu instid0(VALU_DEP_3) | instskip(NEXT) | instid1(VALU_DEP_2)
	v_add_f32_e32 v175, v26, v28
	v_dual_sub_f32 v165, v26, v28 :: v_dual_fmac_f32 v22, 0xbf5db3d7, v21
	v_sub_f32_e32 v26, v30, v35
	s_delay_alu instid0(VALU_DEP_4) | instskip(NEXT) | instid1(VALU_DEP_3)
	v_dual_add_f32 v28, v147, v32 :: v_dual_fmac_f32 v23, 0.5, v130
	v_dual_add_f32 v168, v137, v27 :: v_dual_add_f32 v169, v139, v22
	v_dual_sub_f32 v166, v137, v27 :: v_dual_sub_f32 v167, v139, v22
	v_dual_add_f32 v21, v132, v30 :: v_dual_add_f32 v22, v30, v35
	v_fmamk_f32 v27, v26, 0xbf5db3d7, v25
	v_dual_fmac_f32 v25, 0x3f5db3d7, v26 :: v_dual_add_f32 v26, v131, v147
	v_dual_fmac_f32 v131, -0.5, v28 :: v_dual_sub_f32 v28, v154, v33
	v_add_f32_e32 v30, v154, v33
	v_add_f32_e32 v174, v141, v23
	v_sub_f32_e32 v164, v141, v23
	v_fma_f32 v22, -0.5, v22, v132
	v_sub_f32_e32 v23, v31, v155
	v_fmamk_f32 v29, v28, 0x3f5db3d7, v131
	v_dual_fmac_f32 v131, 0xbf5db3d7, v28 :: v_dual_add_f32 v28, v146, v154
	v_fmac_f32_e32 v146, -0.5, v30
	v_sub_f32_e32 v30, v147, v32
	v_fmamk_f32 v24, v23, 0x3f5db3d7, v22
	v_fmac_f32_e32 v22, 0xbf5db3d7, v23
	v_dual_add_f32 v23, v133, v31 :: v_dual_add_f32 v26, v26, v32
	s_delay_alu instid0(VALU_DEP_4) | instskip(SKIP_2) | instid1(VALU_DEP_4)
	v_fmamk_f32 v31, v30, 0xbf5db3d7, v146
	v_fmac_f32_e32 v146, 0x3f5db3d7, v30
	v_mul_f32_e32 v32, -0.5, v131
	v_dual_add_f32 v23, v23, v155 :: v_dual_add_f32 v28, v28, v33
	s_delay_alu instid0(VALU_DEP_4) | instskip(NEXT) | instid1(VALU_DEP_3)
	v_mul_f32_e32 v30, 0x3f5db3d7, v31
	v_dual_add_f32 v21, v21, v35 :: v_dual_fmac_f32 v32, 0x3f5db3d7, v146
	s_delay_alu instid0(VALU_DEP_2) | instskip(NEXT) | instid1(VALU_DEP_2)
	v_dual_add_f32 v161, v23, v28 :: v_dual_fmac_f32 v30, 0.5, v29
	v_dual_mul_f32 v29, 0xbf5db3d7, v29 :: v_dual_add_f32 v156, v22, v32
	v_sub_f32_e32 v154, v22, v32
	v_add_f32_e32 v22, v36, v148
	v_sub_f32_e32 v159, v23, v28
	s_delay_alu instid0(VALU_DEP_4) | instskip(SKIP_3) | instid1(VALU_DEP_4)
	v_fmac_f32_e32 v29, 0.5, v31
	v_mul_f32_e32 v31, -0.5, v146
	v_sub_f32_e32 v23, v37, v149
	v_fma_f32 v22, -0.5, v22, v134
	v_dual_add_f32 v162, v24, v30 :: v_dual_add_f32 v163, v27, v29
	s_delay_alu instid0(VALU_DEP_4) | instskip(SKIP_1) | instid1(VALU_DEP_4)
	v_dual_fmac_f32 v31, 0xbf5db3d7, v131 :: v_dual_sub_f32 v152, v24, v30
	v_sub_f32_e32 v153, v27, v29
	v_fmamk_f32 v24, v23, 0x3f5db3d7, v22
	v_fmac_f32_e32 v22, 0xbf5db3d7, v23
	s_delay_alu instid0(VALU_DEP_4)
	v_add_f32_e32 v157, v25, v31
	v_sub_f32_e32 v155, v25, v31
	v_add_f32_e32 v25, v37, v149
	v_add_f32_e32 v23, v135, v37
	;; [unrolled: 1-line block ×4, first 2 shown]
	s_delay_alu instid0(VALU_DEP_4) | instskip(SKIP_3) | instid1(VALU_DEP_3)
	v_dual_sub_f32 v158, v21, v26 :: v_dual_fmac_f32 v135, -0.5, v25
	v_sub_f32_e32 v25, v36, v148
	v_add_f32_e32 v29, v39, v140
	v_add_f32_e32 v21, v134, v36
	v_dual_add_f32 v23, v23, v149 :: v_dual_fmamk_f32 v26, v25, 0xbf5db3d7, v135
	v_fmac_f32_e32 v135, 0x3f5db3d7, v25
	v_dual_add_f32 v25, v34, v38 :: v_dual_fmac_f32 v34, -0.5, v27
	v_sub_f32_e32 v27, v39, v140
	v_add_f32_e32 v21, v21, v148
	s_delay_alu instid0(VALU_DEP_2) | instskip(SKIP_3) | instid1(VALU_DEP_4)
	v_dual_add_f32 v25, v25, v178 :: v_dual_fmamk_f32 v28, v27, 0x3f5db3d7, v34
	v_fmac_f32_e32 v34, 0xbf5db3d7, v27
	v_add_f32_e32 v27, v177, v39
	v_fmac_f32_e32 v177, -0.5, v29
	v_dual_sub_f32 v29, v38, v178 :: v_dual_add_f32 v148, v21, v25
	s_delay_alu instid0(VALU_DEP_4) | instskip(NEXT) | instid1(VALU_DEP_4)
	v_mul_f32_e32 v31, -0.5, v34
	v_dual_add_f32 v27, v27, v140 :: v_dual_sub_f32 v146, v21, v25
	s_delay_alu instid0(VALU_DEP_3) | instskip(SKIP_2) | instid1(VALU_DEP_4)
	v_fmamk_f32 v30, v29, 0xbf5db3d7, v177
	v_fmac_f32_e32 v177, 0x3f5db3d7, v29
	v_add_f32_e32 v25, v182, v186
	v_add_f32_e32 v149, v23, v27
	v_sub_f32_e32 v147, v23, v27
	v_mul_f32_e32 v29, 0x3f5db3d7, v30
	v_fmac_f32_e32 v31, 0x3f5db3d7, v177
	v_sub_f32_e32 v23, v182, v186
	v_add_f32_e32 v21, v128, v181
	v_add_f32_e32 v27, v183, v187
	s_delay_alu instid0(VALU_DEP_4) | instskip(SKIP_3) | instid1(VALU_DEP_4)
	v_dual_fmac_f32 v29, 0.5, v28 :: v_dual_add_f32 v144, v22, v31
	v_sub_f32_e32 v142, v22, v31
	v_add_f32_e32 v22, v181, v185
	v_mul_f32_e32 v28, 0xbf5db3d7, v28
	v_add_f32_e32 v150, v24, v29
	v_sub_f32_e32 v140, v24, v29
	v_add_f32_e32 v21, v21, v185
	v_fma_f32 v22, -0.5, v22, v128
	v_fmac_f32_e32 v28, 0.5, v30
	v_dual_mul_f32 v30, -0.5, v177 :: v_dual_add_f32 v29, v184, v188
	s_delay_alu instid0(VALU_DEP_3)
	v_fmamk_f32 v24, v23, 0x3f5db3d7, v22
	v_dual_fmac_f32 v22, 0xbf5db3d7, v23 :: v_dual_add_f32 v23, v129, v182
	v_fmac_f32_e32 v129, -0.5, v25
	v_sub_f32_e32 v25, v181, v185
	v_add_f32_e32 v151, v26, v28
	v_dual_sub_f32 v141, v26, v28 :: v_dual_fmac_f32 v30, 0xbf5db3d7, v34
	s_delay_alu instid0(VALU_DEP_3)
	v_dual_add_f32 v23, v23, v186 :: v_dual_fmamk_f32 v26, v25, 0xbf5db3d7, v129
	v_fmac_f32_e32 v129, 0x3f5db3d7, v25
	v_add_f32_e32 v25, v179, v183
	v_fmac_f32_e32 v179, -0.5, v27
	v_sub_f32_e32 v27, v184, v188
	v_add_f32_e32 v145, v135, v30
	v_sub_f32_e32 v143, v135, v30
	s_delay_alu instid0(VALU_DEP_3) | instskip(SKIP_1) | instid1(VALU_DEP_2)
	v_dual_add_f32 v25, v25, v187 :: v_dual_fmamk_f32 v28, v27, 0x3f5db3d7, v179
	v_fmac_f32_e32 v179, 0xbf5db3d7, v27
	v_dual_add_f32 v27, v180, v184 :: v_dual_add_f32 v136, v21, v25
	v_sub_f32_e32 v134, v21, v25
	s_wait_alu 0xfffd
	v_cndmask_b32_e64 v21, 0, 0x21c, vcc_lo
	v_dual_fmac_f32 v180, -0.5, v29 :: v_dual_sub_f32 v29, v183, v187
	v_mul_f32_e32 v31, -0.5, v179
	v_add_f32_e32 v27, v27, v188
	s_delay_alu instid0(VALU_DEP_4) | instskip(NEXT) | instid1(VALU_DEP_4)
	v_add_lshl_u32 v18, v18, v21, 3
	v_fmamk_f32 v30, v29, 0xbf5db3d7, v180
	s_delay_alu instid0(VALU_DEP_3)
	v_dual_fmac_f32 v180, 0x3f5db3d7, v29 :: v_dual_sub_f32 v135, v23, v27
	ds_store_2addr_b64 v18, v[8:9], v[10:11] offset1:90
	v_add_nc_u32_e32 v8, 0x400, v18
	v_mul_f32_e32 v29, 0x3f5db3d7, v30
	v_fmac_f32_e32 v31, 0x3f5db3d7, v180
	v_add_f32_e32 v137, v23, v27
	ds_store_2addr_b64 v8, v[4:5], v[6:7] offset0:52 offset1:142
	v_add_nc_u32_e32 v4, 0x800, v18
	scratch_store_b32 off, v8, off offset:364 ; 4-byte Folded Spill
	v_fmac_f32_e32 v29, 0.5, v28
	v_mul_f32_e32 v28, 0xbf5db3d7, v28
	v_add_f32_e32 v132, v22, v31
	ds_store_2addr_b64 v4, v[0:1], v[2:3] offset0:104 offset1:194
	v_and_b32_e32 v0, 0xffff, v19
	v_add_f32_e32 v138, v24, v29
	v_fmac_f32_e32 v28, 0.5, v30
	v_mul_f32_e32 v30, -0.5, v180
	v_sub_f32_e32 v130, v24, v29
	v_mul_u32_u24_e32 v0, 0x21c, v0
	v_sub_f32_e32 v128, v22, v31
	s_delay_alu instid0(VALU_DEP_4) | instskip(SKIP_1) | instid1(VALU_DEP_4)
	v_dual_add_f32 v139, v26, v28 :: v_dual_fmac_f32 v30, 0xbf5db3d7, v179
	v_sub_f32_e32 v131, v26, v28
	v_add_lshl_u32 v0, v0, v20, 3
	scratch_store_b32 off, v4, off offset:368 ; 4-byte Folded Spill
	v_add_f32_e32 v133, v129, v30
	v_sub_f32_e32 v129, v129, v30
	v_add_nc_u32_e32 v1, 0x400, v0
	scratch_store_b32 off, v18, off offset:376 ; 4-byte Folded Spill
	ds_store_2addr_b64 v0, v[172:173], v[174:175] offset1:90
	s_clause 0x1
	scratch_store_b32 off, v0, off offset:388
	scratch_store_b32 off, v1, off offset:380
	ds_store_2addr_b64 v1, v[168:169], v[170:171] offset0:52 offset1:142
	v_add_nc_u32_e32 v1, 0x800, v0
	v_mad_u16 v0, 0x21c, v16, v17
	ds_store_2addr_b64 v1, v[164:165], v[166:167] offset0:104 offset1:194
	v_and_b32_e32 v0, 0xffff, v0
	s_delay_alu instid0(VALU_DEP_1)
	v_lshlrev_b32_e32 v0, 3, v0
	s_clause 0x1
	scratch_store_b32 off, v1, off offset:384
	scratch_store_b32 off, v0, off offset:404
	v_add_nc_u32_e32 v1, 0x400, v0
	ds_store_2addr_b64 v0, v[160:161], v[162:163] offset1:90
	scratch_store_b32 off, v1, off offset:392 ; 4-byte Folded Spill
	ds_store_2addr_b64 v1, v[156:157], v[158:159] offset0:52 offset1:142
	v_add_nc_u32_e32 v1, 0x800, v0
	v_mad_u16 v0, 0x21c, v14, v15
	ds_store_2addr_b64 v1, v[152:153], v[154:155] offset0:104 offset1:194
	v_and_b32_e32 v0, 0xffff, v0
	s_delay_alu instid0(VALU_DEP_1)
	v_lshlrev_b32_e32 v0, 3, v0
	s_clause 0x1
	scratch_store_b32 off, v1, off offset:396
	scratch_store_b32 off, v0, off offset:424
	v_add_nc_u32_e32 v1, 0x400, v0
	ds_store_2addr_b64 v0, v[148:149], v[150:151] offset1:90
	scratch_store_b32 off, v1, off offset:408 ; 4-byte Folded Spill
	;; [unrolled: 13-line block ×3, first 2 shown]
	ds_store_2addr_b64 v1, v[132:133], v[134:135] offset0:52 offset1:142
	v_add_nc_u32_e32 v1, 0x800, v0
	scratch_store_b32 off, v1, off offset:432 ; 4-byte Folded Spill
	ds_store_2addr_b64 v1, v[130:131], v[128:129] offset0:104 offset1:194
	v_mad_co_u64_u32 v[0:1], null, v40, 40, s[6:7]
	global_wb scope:SCOPE_SE
	s_wait_storecnt_dscnt 0x0
	s_barrier_signal -1
	s_barrier_wait -1
	global_inv scope:SCOPE_SE
	ds_load_2addr_b64 v[176:179], v68 offset1:108
	ds_load_2addr_b64 v[168:171], v71 offset0:48 offset1:156
	ds_load_2addr_b64 v[10:13], v49 offset0:56 offset1:164
	;; [unrolled: 1-line block ×10, first 2 shown]
	v_mov_b32_e32 v49, v190
	ds_load_2addr_b64 v[164:167], v42 offset0:72 offset1:180
	ds_load_2addr_b64 v[196:199], v50 offset0:96 offset1:204
	;; [unrolled: 1-line block ×4, first 2 shown]
	s_clause 0x2
	global_load_b64 v[3:4], v[0:1], off offset:4328
	global_load_b128 v[136:139], v[0:1], off offset:4312
	global_load_b128 v[140:143], v[0:1], off offset:4296
	s_mov_b32 s6, 0x30abee4d
	s_mov_b32 s7, 0x3f343a27
	s_wait_loadcnt 0x2
	scratch_store_b64 off, v[3:4], off offset:464 ; 8-byte Folded Spill
	s_clause 0x2
	global_load_b64 v[18:19], v[0:1], off offset:8648
	global_load_b128 v[148:151], v[0:1], off offset:8632
	global_load_b128 v[160:163], v[0:1], off offset:8616
	s_wait_loadcnt_dscnt 0x30d
	v_mul_f32_e32 v2, v171, v141
	s_wait_dscnt 0xc
	v_mul_f32_e32 v16, v10, v143
	v_mul_f32_e32 v7, v170, v141
	s_wait_dscnt 0xb
	v_mul_f32_e32 v9, v194, v137
	v_fma_f32 v6, v170, v140, -v2
	v_mul_f32_e32 v2, v11, v143
	s_wait_dscnt 0x9
	v_dual_fmac_f32 v16, v11, v142 :: v_dual_mul_f32 v11, v186, v4
	v_fmac_f32_e32 v7, v171, v140
	v_fmac_f32_e32 v9, v195, v136
	v_fma_f32 v15, v10, v142, -v2
	v_mul_f32_e32 v2, v195, v137
	v_fmac_f32_e32 v11, v187, v3
	s_delay_alu instid0(VALU_DEP_2) | instskip(SKIP_1) | instid1(VALU_DEP_1)
	v_fma_f32 v20, v194, v136, -v2
	v_mul_f32_e32 v2, v23, v139
	v_fma_f32 v17, v22, v138, -v2
	v_mul_f32_e32 v22, v22, v139
	v_mul_f32_e32 v2, v187, v4
	s_delay_alu instid0(VALU_DEP_2) | instskip(NEXT) | instid1(VALU_DEP_2)
	v_fmac_f32_e32 v22, v23, v138
	v_fma_f32 v23, v186, v3, -v2
	s_wait_loadcnt 0x2
	scratch_store_b64 off, v[18:19], off offset:436 ; 8-byte Folded Spill
	s_wait_loadcnt 0x1
	v_mul_f32_e32 v5, v25, v151
	s_wait_loadcnt_dscnt 0x8
	v_mul_f32_e32 v2, v29, v161
	v_dual_mul_f32 v3, v28, v161 :: v_dual_mul_f32 v4, v13, v163
	v_mul_f32_e32 v8, v12, v163
	v_mul_f32_e32 v21, v24, v151
	s_delay_alu instid0(VALU_DEP_4) | instskip(NEXT) | instid1(VALU_DEP_4)
	v_fma_f32 v2, v28, v160, -v2
	v_fmac_f32_e32 v3, v29, v160
	v_fma_f32 v29, v12, v162, -v4
	v_fmac_f32_e32 v8, v13, v162
	s_wait_dscnt 0x7
	v_mul_f32_e32 v4, v33, v149
	v_fma_f32 v28, v24, v150, -v5
	s_wait_dscnt 0x6
	v_mul_f32_e32 v5, v131, v19
	v_mul_f32_e32 v13, v130, v19
	v_fmac_f32_e32 v21, v25, v150
	v_fma_f32 v36, v32, v148, -v4
	v_mul_f32_e32 v4, v32, v149
	v_fma_f32 v32, v130, v18, -v5
	v_fmac_f32_e32 v13, v131, v18
	s_clause 0x2
	global_load_b64 v[37:38], v[0:1], off offset:12968
	global_load_b128 v[128:131], v[0:1], off offset:12952
	global_load_b128 v[144:147], v[0:1], off offset:12936
	s_wait_loadcnt 0x2
	v_dual_fmac_f32 v4, v33, v148 :: v_dual_mul_f32 v187, v132, v38
	scratch_store_b64 off, v[37:38], off offset:444 ; 8-byte Folded Spill
	s_wait_loadcnt 0x0
	v_mul_f32_e32 v5, v31, v145
	v_mul_f32_e32 v19, v30, v145
	v_mul_f32_e32 v27, v34, v129
	v_fmac_f32_e32 v187, v133, v37
	s_wait_dscnt 0x4
	v_mul_f32_e32 v25, v152, v147
	v_fma_f32 v18, v30, v144, -v5
	v_mul_f32_e32 v5, v153, v147
	v_fmac_f32_e32 v19, v31, v144
	v_fmac_f32_e32 v27, v35, v128
	s_wait_dscnt 0x3
	v_mul_f32_e32 v195, v164, v131
	v_fmac_f32_e32 v25, v153, v146
	v_fma_f32 v24, v152, v146, -v5
	v_mul_f32_e32 v5, v35, v129
	s_delay_alu instid0(VALU_DEP_4) | instskip(NEXT) | instid1(VALU_DEP_2)
	v_fmac_f32_e32 v195, v165, v130
	v_fma_f32 v26, v34, v128, -v5
	v_mul_f32_e32 v5, v165, v131
	s_delay_alu instid0(VALU_DEP_1) | instskip(SKIP_1) | instid1(VALU_DEP_1)
	v_fma_f32 v194, v164, v130, -v5
	v_mul_f32_e32 v5, v133, v38
	v_fma_f32 v171, v132, v37, -v5
	s_clause 0x2
	global_load_b64 v[30:31], v[0:1], off offset:17288
	global_load_b128 v[132:135], v[0:1], off offset:17272
	global_load_b128 v[156:159], v[0:1], off offset:17256
	s_wait_loadcnt 0x2
	scratch_store_b64 off, v[30:31], off offset:508 ; 8-byte Folded Spill
	s_wait_loadcnt_dscnt 0x101
	v_mul_f32_e32 v12, v189, v133
	s_wait_loadcnt 0x0
	v_mul_f32_e32 v5, v197, v157
	v_mul_f32_e32 v35, v166, v135
	s_wait_dscnt 0x0
	v_mul_f32_e32 v33, v180, v31
	v_mul_f32_e32 v186, v196, v157
	v_fma_f32 v14, v188, v132, -v12
	v_fma_f32 v170, v196, v156, -v5
	v_mul_f32_e32 v5, v155, v159
	v_mul_f32_e32 v12, v167, v135
	v_fmac_f32_e32 v35, v167, v134
	v_dual_fmac_f32 v33, v181, v30 :: v_dual_mul_f32 v188, v188, v133
	s_delay_alu instid0(VALU_DEP_4) | instskip(SKIP_4) | instid1(VALU_DEP_4)
	v_fma_f32 v10, v154, v158, -v5
	v_mul_f32_e32 v5, v154, v159
	v_fma_f32 v34, v166, v134, -v12
	v_mul_f32_e32 v12, v181, v31
	v_fmac_f32_e32 v188, v189, v132
	v_dual_fmac_f32 v186, v197, v156 :: v_dual_fmac_f32 v5, v155, v158
	s_clause 0x2
	global_load_b64 v[238:239], v[0:1], off offset:21608
	global_load_b128 v[152:155], v[0:1], off offset:21592
	global_load_b128 v[164:167], v[0:1], off offset:21576
	v_fma_f32 v12, v180, v30, -v12
	s_wait_loadcnt 0x2
	v_mul_f32_e32 v40, v183, v239
	s_wait_loadcnt 0x0
	v_dual_mul_f32 v209, v182, v239 :: v_dual_mul_f32 v0, v199, v165
	v_dual_mul_f32 v38, v192, v167 :: v_dual_mul_f32 v31, v198, v165
	s_delay_alu instid0(VALU_DEP_3) | instskip(NEXT) | instid1(VALU_DEP_3)
	v_fma_f32 v208, v182, v238, -v40
	v_dual_add_f32 v40, v176, v15 :: v_dual_fmac_f32 v209, v183, v238
	s_delay_alu instid0(VALU_DEP_4) | instskip(SKIP_2) | instid1(VALU_DEP_4)
	v_fma_f32 v30, v198, v164, -v0
	v_mul_f32_e32 v0, v193, v167
	v_fmac_f32_e32 v38, v193, v166
	v_add_f32_e32 v180, v40, v17
	v_add_f32_e32 v40, v15, v17
	v_sub_f32_e32 v15, v15, v17
	v_fma_f32 v37, v192, v166, -v0
	v_mul_f32_e32 v0, v191, v153
	v_mul_f32_e32 v193, v190, v153
	v_fma_f32 v176, -0.5, v40, v176
	v_dual_sub_f32 v40, v16, v22 :: v_dual_fmac_f32 v31, v199, v164
	s_delay_alu instid0(VALU_DEP_4) | instskip(NEXT) | instid1(VALU_DEP_4)
	v_fma_f32 v39, v190, v152, -v0
	v_dual_fmac_f32 v193, v191, v152 :: v_dual_mul_f32 v0, v185, v155
	s_delay_alu instid0(VALU_DEP_3)
	v_fmamk_f32 v181, v40, 0x3f5db3d7, v176
	v_fmac_f32_e32 v176, 0xbf5db3d7, v40
	v_add_f32_e32 v40, v177, v16
	v_add_f32_e32 v16, v16, v22
	v_fma_f32 v0, v184, v154, -v0
	v_mul_f32_e32 v1, v184, v155
	s_delay_alu instid0(VALU_DEP_4) | instskip(NEXT) | instid1(VALU_DEP_4)
	v_add_f32_e32 v182, v40, v22
	v_fma_f32 v16, -0.5, v16, v177
	s_delay_alu instid0(VALU_DEP_3) | instskip(NEXT) | instid1(VALU_DEP_2)
	v_dual_add_f32 v22, v20, v23 :: v_dual_fmac_f32 v1, v185, v154
	v_fmamk_f32 v17, v15, 0xbf5db3d7, v16
	v_dual_fmac_f32 v16, 0x3f5db3d7, v15 :: v_dual_add_f32 v15, v6, v20
	s_delay_alu instid0(VALU_DEP_3) | instskip(SKIP_1) | instid1(VALU_DEP_3)
	v_fmac_f32_e32 v6, -0.5, v22
	v_sub_f32_e32 v22, v9, v11
	v_add_f32_e32 v15, v15, v23
	s_delay_alu instid0(VALU_DEP_2) | instskip(SKIP_2) | instid1(VALU_DEP_4)
	v_fmamk_f32 v177, v22, 0x3f5db3d7, v6
	v_fmac_f32_e32 v6, 0xbf5db3d7, v22
	v_dual_add_f32 v22, v7, v9 :: v_dual_add_f32 v9, v9, v11
	v_add_f32_e32 v40, v180, v15
	s_delay_alu instid0(VALU_DEP_2) | instskip(NEXT) | instid1(VALU_DEP_3)
	v_add_f32_e32 v183, v22, v11
	v_fmac_f32_e32 v7, -0.5, v9
	v_dual_sub_f32 v9, v20, v23 :: v_dual_mul_f32 v20, -0.5, v6
	s_delay_alu instid0(VALU_DEP_3) | instskip(NEXT) | instid1(VALU_DEP_2)
	v_add_f32_e32 v41, v182, v183
	v_fmamk_f32 v11, v9, 0xbf5db3d7, v7
	v_fmac_f32_e32 v7, 0x3f5db3d7, v9
	s_delay_alu instid0(VALU_DEP_2) | instskip(NEXT) | instid1(VALU_DEP_1)
	v_mul_f32_e32 v9, 0x3f5db3d7, v11
	v_dual_fmac_f32 v20, 0x3f5db3d7, v7 :: v_dual_fmac_f32 v9, 0.5, v177
	s_delay_alu instid0(VALU_DEP_1) | instskip(NEXT) | instid1(VALU_DEP_2)
	v_dual_mul_f32 v177, 0xbf5db3d7, v177 :: v_dual_add_f32 v22, v176, v20
	v_dual_mov_b32 v196, v44 :: v_dual_add_f32 v191, v181, v9
	s_delay_alu instid0(VALU_DEP_2) | instskip(SKIP_3) | instid1(VALU_DEP_4)
	v_fmac_f32_e32 v177, 0.5, v11
	v_mul_f32_e32 v11, -0.5, v7
	v_sub_f32_e32 v189, v181, v9
	v_add_f32_e32 v9, v178, v29
	v_dual_sub_f32 v7, v182, v183 :: v_dual_add_f32 v192, v17, v177
	s_delay_alu instid0(VALU_DEP_4) | instskip(SKIP_3) | instid1(VALU_DEP_4)
	v_dual_fmac_f32 v11, 0xbf5db3d7, v6 :: v_dual_sub_f32 v190, v17, v177
	v_sub_f32_e32 v17, v8, v21
	v_sub_f32_e32 v6, v180, v15
	v_sub_f32_e32 v15, v176, v20
	v_add_f32_e32 v23, v16, v11
	v_dual_sub_f32 v16, v16, v11 :: v_dual_add_f32 v11, v29, v28
	v_add_f32_e32 v20, v36, v32
	v_add_f32_e32 v9, v9, v28
	s_delay_alu instid0(VALU_DEP_3) | instskip(NEXT) | instid1(VALU_DEP_1)
	v_fma_f32 v11, -0.5, v11, v178
	v_fmamk_f32 v178, v17, 0x3f5db3d7, v11
	v_fmac_f32_e32 v11, 0xbf5db3d7, v17
	v_dual_add_f32 v17, v179, v8 :: v_dual_add_f32 v8, v8, v21
	s_delay_alu instid0(VALU_DEP_1) | instskip(NEXT) | instid1(VALU_DEP_2)
	v_add_f32_e32 v17, v17, v21
	v_fmac_f32_e32 v179, -0.5, v8
	v_sub_f32_e32 v8, v29, v28
	s_delay_alu instid0(VALU_DEP_1) | instskip(SKIP_4) | instid1(VALU_DEP_3)
	v_fmamk_f32 v180, v8, 0xbf5db3d7, v179
	v_fmac_f32_e32 v179, 0x3f5db3d7, v8
	v_add_f32_e32 v8, v2, v36
	v_fmac_f32_e32 v2, -0.5, v20
	v_sub_f32_e32 v20, v4, v13
	v_add_f32_e32 v8, v8, v32
	s_delay_alu instid0(VALU_DEP_2)
	v_fmamk_f32 v21, v20, 0x3f5db3d7, v2
	v_fmac_f32_e32 v2, 0xbf5db3d7, v20
	v_add_f32_e32 v20, v3, v4
	v_add_f32_e32 v4, v4, v13
	;; [unrolled: 1-line block ×3, first 2 shown]
	v_sub_f32_e32 v28, v9, v8
	v_add_f32_e32 v8, v24, v194
	v_add_f32_e32 v29, v20, v13
	v_fmac_f32_e32 v3, -0.5, v4
	v_sub_f32_e32 v4, v36, v32
	v_mul_f32_e32 v36, 0xbf5db3d7, v21
	s_delay_alu instid0(VALU_DEP_4) | instskip(SKIP_1) | instid1(VALU_DEP_4)
	v_dual_mul_f32 v32, -0.5, v2 :: v_dual_add_f32 v177, v17, v29
	v_sub_f32_e32 v29, v17, v29
	v_fmamk_f32 v13, v4, 0xbf5db3d7, v3
	v_fmac_f32_e32 v3, 0x3f5db3d7, v4
	v_fma_f32 v8, -0.5, v8, v172
	v_sub_f32_e32 v9, v25, v195
	s_delay_alu instid0(VALU_DEP_4) | instskip(NEXT) | instid1(VALU_DEP_4)
	v_dual_sub_f32 v17, v24, v194 :: v_dual_mul_f32 v4, 0x3f5db3d7, v13
	v_dual_fmac_f32 v36, 0.5, v13 :: v_dual_mul_f32 v13, -0.5, v3
	v_fmac_f32_e32 v32, 0x3f5db3d7, v3
	s_delay_alu instid0(VALU_DEP_2) | instskip(NEXT) | instid1(VALU_DEP_2)
	v_dual_fmac_f32 v4, 0.5, v21 :: v_dual_add_f32 v21, v180, v36
	v_dual_fmac_f32 v13, 0xbf5db3d7, v2 :: v_dual_add_f32 v182, v11, v32
	v_sub_f32_e32 v198, v11, v32
	s_delay_alu instid0(VALU_DEP_3) | instskip(NEXT) | instid1(VALU_DEP_3)
	v_add_f32_e32 v20, v178, v4
	v_dual_sub_f32 v2, v178, v4 :: v_dual_add_f32 v183, v179, v13
	v_sub_f32_e32 v199, v179, v13
	v_dual_add_f32 v13, v25, v195 :: v_dual_add_f32 v4, v172, v24
	v_dual_add_f32 v24, v26, v171 :: v_dual_fmamk_f32 v11, v9, 0x3f5db3d7, v8
	v_fmac_f32_e32 v8, 0xbf5db3d7, v9
	s_delay_alu instid0(VALU_DEP_3) | instskip(SKIP_2) | instid1(VALU_DEP_3)
	v_fma_f32 v13, -0.5, v13, v173
	v_add_f32_e32 v9, v173, v25
	v_sub_f32_e32 v3, v180, v36
	v_dual_add_f32 v4, v4, v194 :: v_dual_fmamk_f32 v25, v17, 0xbf5db3d7, v13
	v_fmac_f32_e32 v13, 0x3f5db3d7, v17
	v_dual_add_f32 v17, v18, v26 :: v_dual_fmac_f32 v18, -0.5, v24
	v_sub_f32_e32 v24, v27, v187
	v_add_f32_e32 v9, v9, v195
	s_delay_alu instid0(VALU_DEP_2) | instskip(SKIP_2) | instid1(VALU_DEP_3)
	v_dual_add_f32 v17, v17, v171 :: v_dual_fmamk_f32 v32, v24, 0x3f5db3d7, v18
	v_fmac_f32_e32 v18, 0xbf5db3d7, v24
	v_add_f32_e32 v24, v19, v27
	v_add_f32_e32 v194, v4, v17
	s_delay_alu instid0(VALU_DEP_2) | instskip(NEXT) | instid1(VALU_DEP_4)
	v_add_f32_e32 v36, v24, v187
	v_dual_add_f32 v24, v27, v187 :: v_dual_mul_f32 v27, -0.5, v18
	s_delay_alu instid0(VALU_DEP_2) | instskip(NEXT) | instid1(VALU_DEP_2)
	v_add_f32_e32 v195, v9, v36
	v_dual_fmac_f32 v19, -0.5, v24 :: v_dual_sub_f32 v24, v26, v171
	s_delay_alu instid0(VALU_DEP_1) | instskip(NEXT) | instid1(VALU_DEP_1)
	v_fmamk_f32 v26, v24, 0xbf5db3d7, v19
	v_dual_fmac_f32 v19, 0x3f5db3d7, v24 :: v_dual_mul_f32 v24, 0x3f5db3d7, v26
	s_delay_alu instid0(VALU_DEP_1) | instskip(NEXT) | instid1(VALU_DEP_1)
	v_dual_fmac_f32 v27, 0x3f5db3d7, v19 :: v_dual_fmac_f32 v24, 0.5, v32
	v_add_f32_e32 v184, v8, v27
	v_mul_f32_e32 v32, 0xbf5db3d7, v32
	s_delay_alu instid0(VALU_DEP_3)
	v_add_f32_e32 v171, v11, v24
	v_sub_f32_e32 v180, v11, v24
	v_sub_f32_e32 v24, v8, v27
	v_add_f32_e32 v8, v10, v34
	v_fmac_f32_e32 v32, 0.5, v26
	v_dual_mul_f32 v26, -0.5, v19 :: v_dual_sub_f32 v19, v9, v36
	v_sub_f32_e32 v9, v5, v35
	s_delay_alu instid0(VALU_DEP_4) | instskip(NEXT) | instid1(VALU_DEP_4)
	v_fma_f32 v8, -0.5, v8, v174
	v_add_f32_e32 v172, v25, v32
	s_delay_alu instid0(VALU_DEP_4) | instskip(SKIP_1) | instid1(VALU_DEP_4)
	v_fmac_f32_e32 v26, 0xbf5db3d7, v18
	v_sub_f32_e32 v18, v4, v17
	v_dual_add_f32 v4, v174, v10 :: v_dual_fmamk_f32 v11, v9, 0x3f5db3d7, v8
	v_fmac_f32_e32 v8, 0xbf5db3d7, v9
	v_add_f32_e32 v9, v175, v5
	v_add_f32_e32 v5, v5, v35
	v_add_f32_e32 v185, v13, v26
	v_sub_f32_e32 v181, v25, v32
	v_sub_f32_e32 v25, v13, v26
	s_delay_alu instid0(VALU_DEP_4) | instskip(SKIP_2) | instid1(VALU_DEP_2)
	v_dual_add_f32 v4, v4, v34 :: v_dual_fmac_f32 v175, -0.5, v5
	v_sub_f32_e32 v5, v10, v34
	v_dual_add_f32 v10, v14, v12 :: v_dual_add_f32 v9, v9, v35
	v_fmamk_f32 v13, v5, 0xbf5db3d7, v175
	v_fmac_f32_e32 v175, 0x3f5db3d7, v5
	v_add_f32_e32 v5, v170, v14
	s_delay_alu instid0(VALU_DEP_4) | instskip(NEXT) | instid1(VALU_DEP_2)
	v_fmac_f32_e32 v170, -0.5, v10
	v_dual_sub_f32 v10, v188, v33 :: v_dual_add_f32 v5, v5, v12
	s_delay_alu instid0(VALU_DEP_1) | instskip(SKIP_2) | instid1(VALU_DEP_2)
	v_fmamk_f32 v17, v10, 0x3f5db3d7, v170
	v_fmac_f32_e32 v170, 0xbf5db3d7, v10
	v_add_f32_e32 v10, v186, v188
	v_dual_add_f32 v26, v4, v5 :: v_dual_mul_f32 v173, -0.5, v170
	s_delay_alu instid0(VALU_DEP_2) | instskip(NEXT) | instid1(VALU_DEP_1)
	v_add_f32_e32 v36, v10, v33
	v_dual_add_f32 v10, v188, v33 :: v_dual_add_f32 v27, v9, v36
	s_delay_alu instid0(VALU_DEP_1) | instskip(SKIP_1) | instid1(VALU_DEP_1)
	v_fmac_f32_e32 v186, -0.5, v10
	v_sub_f32_e32 v10, v14, v12
	v_fmamk_f32 v12, v10, 0xbf5db3d7, v186
	v_fmac_f32_e32 v186, 0x3f5db3d7, v10
	v_sub_f32_e32 v10, v4, v5
	s_delay_alu instid0(VALU_DEP_2) | instskip(NEXT) | instid1(VALU_DEP_1)
	v_dual_mul_f32 v14, 0x3f5db3d7, v12 :: v_dual_fmac_f32 v173, 0x3f5db3d7, v186
	v_fmac_f32_e32 v14, 0.5, v17
	s_delay_alu instid0(VALU_DEP_2) | instskip(SKIP_3) | instid1(VALU_DEP_3)
	v_add_f32_e32 v34, v8, v173
	v_mul_f32_e32 v17, 0xbf5db3d7, v17
	v_sub_f32_e32 v4, v8, v173
	v_add_f32_e32 v8, v168, v37
	v_dual_add_f32 v32, v11, v14 :: v_dual_fmac_f32 v17, 0.5, v12
	v_mul_f32_e32 v12, -0.5, v186
	v_sub_f32_e32 v186, v11, v14
	s_delay_alu instid0(VALU_DEP_4) | instskip(SKIP_4) | instid1(VALU_DEP_4)
	v_add_f32_e32 v14, v8, v0
	v_add_f32_e32 v8, v37, v0
	;; [unrolled: 1-line block ×3, first 2 shown]
	v_sub_f32_e32 v187, v13, v17
	v_dual_sub_f32 v11, v9, v36 :: v_dual_fmac_f32 v12, 0xbf5db3d7, v170
	v_fma_f32 v17, -0.5, v8, v168
	v_sub_f32_e32 v8, v38, v1
	v_sub_f32_e32 v0, v37, v0
	s_delay_alu instid0(VALU_DEP_4) | instskip(NEXT) | instid1(VALU_DEP_3)
	v_sub_f32_e32 v5, v175, v12
	v_dual_add_f32 v35, v175, v12 :: v_dual_fmamk_f32 v36, v8, 0x3f5db3d7, v17
	v_dual_fmac_f32 v17, 0xbf5db3d7, v8 :: v_dual_add_f32 v8, v169, v38
	s_delay_alu instid0(VALU_DEP_1) | instskip(SKIP_1) | instid1(VALU_DEP_1)
	v_add_f32_e32 v170, v8, v1
	v_dual_add_f32 v1, v38, v1 :: v_dual_add_f32 v8, v39, v208
	v_fmac_f32_e32 v169, -0.5, v1
	s_delay_alu instid0(VALU_DEP_1) | instskip(SKIP_1) | instid1(VALU_DEP_4)
	v_fmamk_f32 v1, v0, 0xbf5db3d7, v169
	v_dual_fmac_f32 v169, 0x3f5db3d7, v0 :: v_dual_add_f32 v0, v30, v39
	v_fmac_f32_e32 v30, -0.5, v8
	v_sub_f32_e32 v8, v193, v209
	s_delay_alu instid0(VALU_DEP_3) | instskip(NEXT) | instid1(VALU_DEP_2)
	v_add_f32_e32 v0, v0, v208
	v_fmamk_f32 v13, v8, 0x3f5db3d7, v30
	v_fmac_f32_e32 v30, 0xbf5db3d7, v8
	v_add_f32_e32 v8, v31, v193
	s_delay_alu instid0(VALU_DEP_2) | instskip(NEXT) | instid1(VALU_DEP_2)
	v_dual_mul_f32 v173, 0xbf5db3d7, v13 :: v_dual_mul_f32 v168, -0.5, v30
	v_add_f32_e32 v37, v8, v209
	v_add_f32_e32 v8, v193, v209
	s_delay_alu instid0(VALU_DEP_2) | instskip(NEXT) | instid1(VALU_DEP_2)
	v_add_f32_e32 v9, v170, v37
	v_fmac_f32_e32 v31, -0.5, v8
	v_sub_f32_e32 v8, v39, v208
	s_delay_alu instid0(VALU_DEP_1) | instskip(SKIP_1) | instid1(VALU_DEP_2)
	v_fmamk_f32 v38, v8, 0xbf5db3d7, v31
	v_fmac_f32_e32 v31, 0x3f5db3d7, v8
	v_dual_add_f32 v8, v14, v0 :: v_dual_mul_f32 v39, 0x3f5db3d7, v38
	s_delay_alu instid0(VALU_DEP_2) | instskip(SKIP_1) | instid1(VALU_DEP_3)
	v_dual_fmac_f32 v173, 0.5, v38 :: v_dual_mul_f32 v38, -0.5, v31
	v_dual_fmac_f32 v168, 0x3f5db3d7, v31 :: v_dual_sub_f32 v31, v170, v37
	v_fmac_f32_e32 v39, 0.5, v13
	s_delay_alu instid0(VALU_DEP_3) | instskip(NEXT) | instid1(VALU_DEP_3)
	v_dual_add_f32 v179, v1, v173 :: v_dual_fmac_f32 v38, 0xbf5db3d7, v30
	v_add_f32_e32 v12, v17, v168
	v_sub_f32_e32 v30, v14, v0
	s_delay_alu instid0(VALU_DEP_4) | instskip(NEXT) | instid1(VALU_DEP_4)
	v_add_f32_e32 v178, v36, v39
	v_dual_sub_f32 v174, v36, v39 :: v_dual_add_f32 v13, v169, v38
	v_sub_f32_e32 v168, v17, v168
	v_sub_f32_e32 v175, v1, v173
	;; [unrolled: 1-line block ×3, first 2 shown]
	ds_store_b64 v68, v[191:192] offset:4320
	ds_store_b64 v68, v[22:23] offset:8640
	;; [unrolled: 1-line block ×5, first 2 shown]
	ds_store_2addr_b64 v68, v[40:41], v[176:177] offset1:108
	ds_store_b64 v68, v[182:183] offset:9504
	ds_store_b64 v68, v[2:3] offset:18144
	ds_store_2addr_b64 v45, v[20:21], v[171:172] offset0:136 offset1:244
	ds_store_2addr_b64 v46, v[28:29], v[18:19] offset0:64 offset1:172
	;; [unrolled: 1-line block ×5, first 2 shown]
	ds_store_b64 v68, v[10:11] offset:15552
	ds_store_2addr_b64 v42, v[180:181], v[186:187] offset0:72 offset1:180
	ds_store_b64 v68, v[4:5] offset:24192
	ds_store_b64 v68, v[8:9] offset:3456
	ds_store_2addr_b64 v50, v[32:33], v[178:179] offset0:96 offset1:204
	ds_store_b64 v68, v[12:13] offset:12096
	ds_store_b64 v68, v[30:31] offset:16416
	;; [unrolled: 1-line block ×4, first 2 shown]
	global_wb scope:SCOPE_SE
	s_wait_storecnt_dscnt 0x0
	s_barrier_signal -1
	s_barrier_wait -1
	global_inv scope:SCOPE_SE
	global_load_b64 v[4:5], v68, s[4:5] offset:25920
	ds_load_2addr_b64 v[0:3], v68 offset1:108
	v_dual_mov_b32 v29, v45 :: v_dual_add_nc_u32 v24, 0x4000, v68
	v_mov_b32_e32 v34, v43
	v_dual_mov_b32 v198, v47 :: v_dual_mov_b32 v41, v50
	s_mul_u64 s[4:5], s[0:1], 0x21c0
	s_delay_alu instid0(VALU_DEP_3) | instskip(NEXT) | instid1(VALU_DEP_3)
	v_mov_b32_e32 v208, v29
	v_mov_b32_e32 v40, v34
	s_wait_loadcnt_dscnt 0x0
	v_mul_f32_e32 v6, v1, v5
	v_mul_f32_e32 v7, v0, v5
	s_delay_alu instid0(VALU_DEP_2) | instskip(NEXT) | instid1(VALU_DEP_2)
	v_fma_f32 v6, v0, v4, -v6
	v_fmac_f32_e32 v7, v1, v4
	global_load_b64 v[0:1], v68, s[10:11] offset:8640
	ds_store_b64 v68, v[6:7]
	ds_load_2addr_b64 v[4:7], v51 offset0:56 offset1:164
	ds_load_2addr_b64 v[168:171], v44 offset0:80 offset1:188
	v_mov_b32_e32 v44, v24
	s_wait_loadcnt_dscnt 0x1
	v_mul_f32_e32 v8, v5, v1
	v_mul_f32_e32 v13, v4, v1
	s_delay_alu instid0(VALU_DEP_2) | instskip(NEXT) | instid1(VALU_DEP_2)
	v_fma_f32 v12, v4, v0, -v8
	v_fmac_f32_e32 v13, v5, v0
	global_load_b64 v[0:1], v68, s[10:11] offset:17280
	ds_load_2addr_b64 v[8:11], v24 offset0:112 offset1:220
	s_wait_loadcnt_dscnt 0x0
	v_mul_f32_e32 v4, v9, v1
	v_mul_f32_e32 v15, v8, v1
	s_delay_alu instid0(VALU_DEP_2) | instskip(NEXT) | instid1(VALU_DEP_2)
	v_fma_f32 v14, v8, v0, -v4
	v_fmac_f32_e32 v15, v9, v0
	global_load_b64 v[0:1], v68, s[10:11] offset:864
	s_wait_loadcnt 0x0
	v_mul_f32_e32 v4, v3, v1
	v_mul_f32_e32 v5, v2, v1
	s_delay_alu instid0(VALU_DEP_2) | instskip(NEXT) | instid1(VALU_DEP_2)
	v_fma_f32 v4, v2, v0, -v4
	v_fmac_f32_e32 v5, v3, v0
	global_load_b64 v[0:1], v68, s[10:11] offset:9504
	s_wait_loadcnt 0x0
	v_mul_f32_e32 v2, v7, v1
	v_mul_f32_e32 v9, v6, v1
	s_delay_alu instid0(VALU_DEP_2) | instskip(NEXT) | instid1(VALU_DEP_2)
	v_fma_f32 v8, v6, v0, -v2
	v_fmac_f32_e32 v9, v7, v0
	s_clause 0x1
	global_load_b64 v[0:1], v68, s[10:11] offset:18144
	global_load_b64 v[6:7], v68, s[10:11] offset:1728
	s_wait_loadcnt 0x1
	v_mul_f32_e32 v2, v11, v1
	v_mul_f32_e32 v17, v10, v1
	s_delay_alu instid0(VALU_DEP_2) | instskip(NEXT) | instid1(VALU_DEP_2)
	v_fma_f32 v16, v10, v0, -v2
	v_fmac_f32_e32 v17, v11, v0
	ds_load_2addr_b64 v[0:3], v48 offset0:88 offset1:196
	s_wait_loadcnt_dscnt 0x0
	v_mul_f32_e32 v10, v1, v7
	v_mul_f32_e32 v11, v0, v7
	s_delay_alu instid0(VALU_DEP_2) | instskip(NEXT) | instid1(VALU_DEP_2)
	v_fma_f32 v10, v0, v6, -v10
	v_fmac_f32_e32 v11, v1, v6
	global_load_b64 v[0:1], v68, s[10:11] offset:10368
	ds_store_2addr_b64 v68, v[4:5], v[10:11] offset0:108 offset1:216
	ds_load_2addr_b64 v[4:7], v49 offset0:16 offset1:124
	s_wait_loadcnt_dscnt 0x0
	v_mul_f32_e32 v10, v5, v1
	v_mul_f32_e32 v11, v4, v1
	s_delay_alu instid0(VALU_DEP_2) | instskip(NEXT) | instid1(VALU_DEP_2)
	v_fma_f32 v10, v4, v0, -v10
	v_fmac_f32_e32 v11, v5, v0
	v_add_nc_u32_e32 v0, 0x2400, v68
	ds_store_2addr_b64 v0, v[8:9], v[10:11] offset0:36 offset1:144
	global_load_b64 v[0:1], v68, s[10:11] offset:19008
	ds_load_2addr_b64 v[8:11], v42 offset0:72 offset1:180
	s_wait_loadcnt_dscnt 0x0
	v_mul_f32_e32 v4, v9, v1
	v_mul_f32_e32 v5, v8, v1
	s_delay_alu instid0(VALU_DEP_2) | instskip(NEXT) | instid1(VALU_DEP_2)
	v_fma_f32 v4, v8, v0, -v4
	v_fmac_f32_e32 v5, v9, v0
	v_add_nc_u32_e32 v0, 0x4400, v68
	ds_store_2addr_b64 v0, v[16:17], v[4:5] offset0:92 offset1:200
	global_load_b64 v[0:1], v68, s[10:11] offset:2592
	s_wait_loadcnt 0x0
	v_mul_f32_e32 v4, v3, v1
	v_mul_f32_e32 v5, v2, v1
	s_delay_alu instid0(VALU_DEP_2) | instskip(NEXT) | instid1(VALU_DEP_2)
	v_fma_f32 v4, v2, v0, -v4
	v_fmac_f32_e32 v5, v3, v0
	global_load_b64 v[0:1], v68, s[10:11] offset:11232
	s_wait_loadcnt 0x0
	v_mul_f32_e32 v2, v7, v1
	v_mul_f32_e32 v9, v6, v1
	s_delay_alu instid0(VALU_DEP_2) | instskip(NEXT) | instid1(VALU_DEP_2)
	v_fma_f32 v8, v6, v0, -v2
	v_fmac_f32_e32 v9, v7, v0
	s_clause 0x1
	global_load_b64 v[0:1], v68, s[10:11] offset:19872
	global_load_b64 v[6:7], v68, s[10:11] offset:3456
	s_wait_loadcnt 0x1
	v_mul_f32_e32 v2, v11, v1
	v_mul_f32_e32 v17, v10, v1
	s_delay_alu instid0(VALU_DEP_2) | instskip(NEXT) | instid1(VALU_DEP_2)
	v_fma_f32 v16, v10, v0, -v2
	v_fmac_f32_e32 v17, v11, v0
	ds_load_2addr_b64 v[0:3], v71 offset0:48 offset1:156
	s_wait_loadcnt_dscnt 0x0
	v_mul_f32_e32 v10, v1, v7
	v_mul_f32_e32 v11, v0, v7
	s_delay_alu instid0(VALU_DEP_2) | instskip(NEXT) | instid1(VALU_DEP_2)
	v_fma_f32 v10, v0, v6, -v10
	v_dual_fmac_f32 v11, v1, v6 :: v_dual_add_nc_u32 v0, 0x800, v68
	ds_store_2addr_b64 v0, v[4:5], v[10:11] offset0:68 offset1:176
	global_load_b64 v[0:1], v68, s[10:11] offset:12096
	ds_load_2addr_b64 v[4:7], v70 offset0:104 offset1:212
	s_wait_loadcnt_dscnt 0x0
	v_mul_f32_e32 v10, v5, v1
	v_mul_f32_e32 v11, v4, v1
	s_delay_alu instid0(VALU_DEP_2) | instskip(NEXT) | instid1(VALU_DEP_2)
	v_fma_f32 v10, v4, v0, -v10
	v_fmac_f32_e32 v11, v5, v0
	global_load_b64 v[0:1], v68, s[10:11] offset:20736
	ds_store_2addr_b64 v49, v[8:9], v[10:11] offset0:124 offset1:232
	ds_load_2addr_b64 v[8:11], v69 offset0:32 offset1:140
	s_wait_loadcnt_dscnt 0x0
	v_mul_f32_e32 v4, v9, v1
	v_mul_f32_e32 v5, v8, v1
	s_delay_alu instid0(VALU_DEP_2) | instskip(NEXT) | instid1(VALU_DEP_2)
	v_fma_f32 v4, v8, v0, -v4
	v_fmac_f32_e32 v5, v9, v0
	v_add_nc_u32_e32 v0, 0x4c00, v68
	ds_store_2addr_b64 v0, v[16:17], v[4:5] offset0:52 offset1:160
	global_load_b64 v[0:1], v68, s[10:11] offset:4320
	s_wait_loadcnt 0x0
	v_mul_f32_e32 v4, v3, v1
	v_mul_f32_e32 v5, v2, v1
	s_delay_alu instid0(VALU_DEP_2) | instskip(NEXT) | instid1(VALU_DEP_2)
	v_fma_f32 v4, v2, v0, -v4
	v_fmac_f32_e32 v5, v3, v0
	global_load_b64 v[0:1], v68, s[10:11] offset:12960
	s_wait_loadcnt 0x0
	v_mul_f32_e32 v2, v7, v1
	v_mul_f32_e32 v9, v6, v1
	s_delay_alu instid0(VALU_DEP_2) | instskip(NEXT) | instid1(VALU_DEP_2)
	v_fma_f32 v8, v6, v0, -v2
	v_fmac_f32_e32 v9, v7, v0
	s_clause 0x1
	global_load_b64 v[0:1], v68, s[10:11] offset:21600
	global_load_b64 v[6:7], v68, s[10:11] offset:5184
	s_wait_loadcnt 0x1
	v_mul_f32_e32 v2, v11, v1
	v_mul_f32_e32 v17, v10, v1
	s_delay_alu instid0(VALU_DEP_2) | instskip(NEXT) | instid1(VALU_DEP_2)
	v_fma_f32 v16, v10, v0, -v2
	v_fmac_f32_e32 v17, v11, v0
	ds_load_2addr_b64 v[0:3], v45 offset0:136 offset1:244
	s_wait_loadcnt_dscnt 0x0
	v_mul_f32_e32 v10, v1, v7
	v_mul_f32_e32 v11, v0, v7
	s_delay_alu instid0(VALU_DEP_2) | instskip(NEXT) | instid1(VALU_DEP_2)
	v_fma_f32 v10, v0, v6, -v10
	v_fmac_f32_e32 v11, v1, v6
	global_load_b64 v[0:1], v68, s[10:11] offset:13824
	ds_store_2addr_b64 v45, v[4:5], v[10:11] offset0:28 offset1:136
	ds_load_2addr_b64 v[4:7], v46 offset0:64 offset1:172
	s_wait_loadcnt_dscnt 0x0
	v_dual_mov_b32 v45, v42 :: v_dual_mul_f32 v10, v5, v1
	v_mul_f32_e32 v11, v4, v1
	s_delay_alu instid0(VALU_DEP_2) | instskip(NEXT) | instid1(VALU_DEP_2)
	v_fma_f32 v10, v4, v0, -v10
	v_fmac_f32_e32 v11, v5, v0
	v_add_nc_u32_e32 v0, 0x3000, v68
	ds_store_2addr_b64 v0, v[8:9], v[10:11] offset0:84 offset1:192
	global_load_b64 v[0:1], v68, s[10:11] offset:22464
	ds_load_2addr_b64 v[8:11], v47 offset0:120 offset1:228
	s_wait_loadcnt_dscnt 0x0
	v_mul_f32_e32 v4, v9, v1
	v_mul_f32_e32 v5, v8, v1
	s_delay_alu instid0(VALU_DEP_2) | instskip(NEXT) | instid1(VALU_DEP_2)
	v_fma_f32 v4, v8, v0, -v4
	v_fmac_f32_e32 v5, v9, v0
	global_load_b64 v[0:1], v68, s[10:11] offset:6048
	ds_store_2addr_b64 v69, v[16:17], v[4:5] offset0:140 offset1:248
	s_wait_loadcnt 0x0
	v_mul_f32_e32 v4, v3, v1
	v_mul_f32_e32 v5, v2, v1
	s_delay_alu instid0(VALU_DEP_2) | instskip(NEXT) | instid1(VALU_DEP_2)
	v_fma_f32 v4, v2, v0, -v4
	v_fmac_f32_e32 v5, v3, v0
	global_load_b64 v[0:1], v68, s[10:11] offset:14688
	s_wait_loadcnt 0x0
	v_mul_f32_e32 v2, v7, v1
	v_mul_f32_e32 v9, v6, v1
	s_delay_alu instid0(VALU_DEP_2) | instskip(NEXT) | instid1(VALU_DEP_2)
	v_fma_f32 v8, v6, v0, -v2
	v_fmac_f32_e32 v9, v7, v0
	s_clause 0x1
	global_load_b64 v[0:1], v68, s[10:11] offset:23328
	global_load_b64 v[6:7], v68, s[10:11] offset:6912
	s_wait_loadcnt 0x1
	v_mul_f32_e32 v2, v11, v1
	v_mul_f32_e32 v17, v10, v1
	s_delay_alu instid0(VALU_DEP_2) | instskip(NEXT) | instid1(VALU_DEP_2)
	v_fma_f32 v16, v10, v0, -v2
	v_fmac_f32_e32 v17, v11, v0
	ds_load_2addr_b64 v[0:3], v50 offset0:96 offset1:204
	s_wait_loadcnt_dscnt 0x0
	v_mul_f32_e32 v10, v1, v7
	v_mul_f32_e32 v11, v0, v7
	s_delay_alu instid0(VALU_DEP_2) | instskip(NEXT) | instid1(VALU_DEP_2)
	v_fma_f32 v10, v0, v6, -v10
	v_dual_fmac_f32 v11, v1, v6 :: v_dual_add_nc_u32 v0, 0x1400, v68
	ds_store_2addr_b64 v0, v[4:5], v[10:11] offset0:116 offset1:224
	global_load_b64 v[0:1], v68, s[10:11] offset:15552
	ds_load_2addr_b64 v[4:7], v43 offset0:24 offset1:132
	s_wait_loadcnt_dscnt 0x0
	v_dual_mov_b32 v43, v70 :: v_dual_mul_f32 v10, v5, v1
	v_mul_f32_e32 v11, v4, v1
	s_delay_alu instid0(VALU_DEP_2) | instskip(NEXT) | instid1(VALU_DEP_2)
	v_fma_f32 v10, v4, v0, -v10
	v_fmac_f32_e32 v11, v5, v0
	v_add_nc_u32_e32 v0, 0x3800, v68
	ds_store_2addr_b64 v0, v[8:9], v[10:11] offset0:44 offset1:152
	global_load_b64 v[0:1], v68, s[10:11] offset:24192
	s_wait_loadcnt 0x0
	v_mul_f32_e32 v4, v169, v1
	v_mul_f32_e32 v5, v168, v1
	s_delay_alu instid0(VALU_DEP_2) | instskip(NEXT) | instid1(VALU_DEP_2)
	v_fma_f32 v4, v168, v0, -v4
	v_fmac_f32_e32 v5, v169, v0
	v_add_nc_u32_e32 v0, 0x5800, v68
	ds_store_2addr_b64 v0, v[16:17], v[4:5] offset0:100 offset1:208
	global_load_b64 v[0:1], v68, s[10:11] offset:7776
	s_wait_loadcnt 0x0
	v_mul_f32_e32 v4, v3, v1
	;; [unrolled: 9-line block ×3, first 2 shown]
	v_mul_f32_e32 v3, v6, v1
	s_delay_alu instid0(VALU_DEP_2) | instskip(NEXT) | instid1(VALU_DEP_2)
	v_fma_f32 v2, v6, v0, -v2
	v_fmac_f32_e32 v3, v7, v0
	global_load_b64 v[0:1], v68, s[10:11] offset:25056
	ds_store_2addr_b64 v24, v[2:3], v[14:15] offset0:4 offset1:112
	s_wait_loadcnt 0x0
	v_mul_f32_e32 v2, v171, v1
	v_mul_f32_e32 v3, v170, v1
	s_delay_alu instid0(VALU_DEP_2) | instskip(NEXT) | instid1(VALU_DEP_2)
	v_fma_f32 v2, v170, v0, -v2
	v_fmac_f32_e32 v3, v171, v0
	ds_store_b64 v68, v[2:3] offset:25056
	global_wb scope:SCOPE_SE
	s_wait_dscnt 0x0
	s_barrier_signal -1
	s_barrier_wait -1
	global_inv scope:SCOPE_SE
	ds_load_2addr_b64 v[184:187], v68 offset1:108
	ds_load_2addr_b64 v[5:8], v51 offset0:56 offset1:164
	ds_load_2addr_b64 v[9:12], v24 offset0:112 offset1:220
	;; [unrolled: 1-line block ×14, first 2 shown]
	global_wb scope:SCOPE_SE
	s_wait_dscnt 0x0
	s_barrier_signal -1
	s_barrier_wait -1
	global_inv scope:SCOPE_SE
	v_dual_mov_b32 v42, v69 :: v_dual_mov_b32 v69, v45
	v_mov_b32_e32 v50, v44
	v_mov_b32_e32 v70, v51
	v_add_f32_e32 v4, v184, v5
	v_dual_sub_f32 v34, v6, v10 :: v_dual_mov_b32 v47, v43
	s_delay_alu instid0(VALU_DEP_2) | instskip(SKIP_1) | instid1(VALU_DEP_1)
	v_add_f32_e32 v33, v4, v9
	v_add_f32_e32 v4, v5, v9
	v_fma_f32 v184, -0.5, v4, v184
	s_delay_alu instid0(VALU_DEP_1) | instskip(SKIP_3) | instid1(VALU_DEP_2)
	v_fmamk_f32 v4, v34, 0xbf5db3d7, v184
	v_fmac_f32_e32 v184, 0x3f5db3d7, v34
	v_add_f32_e32 v34, v185, v6
	v_add_f32_e32 v6, v6, v10
	;; [unrolled: 1-line block ×3, first 2 shown]
	s_delay_alu instid0(VALU_DEP_2) | instskip(SKIP_1) | instid1(VALU_DEP_1)
	v_fma_f32 v185, -0.5, v6, v185
	v_sub_f32_e32 v6, v5, v9
	v_dual_sub_f32 v10, v8, v12 :: v_dual_fmamk_f32 v5, v6, 0x3f5db3d7, v185
	v_dual_fmac_f32 v185, 0xbf5db3d7, v6 :: v_dual_add_f32 v6, v186, v7
	s_delay_alu instid0(VALU_DEP_1) | instskip(SKIP_1) | instid1(VALU_DEP_1)
	v_add_f32_e32 v9, v6, v11
	v_add_f32_e32 v6, v7, v11
	v_fma_f32 v186, -0.5, v6, v186
	s_delay_alu instid0(VALU_DEP_1) | instskip(SKIP_3) | instid1(VALU_DEP_2)
	v_fmamk_f32 v6, v10, 0xbf5db3d7, v186
	v_fmac_f32_e32 v186, 0x3f5db3d7, v10
	v_add_f32_e32 v10, v187, v8
	v_add_f32_e32 v8, v8, v12
	;; [unrolled: 1-line block ×3, first 2 shown]
	s_delay_alu instid0(VALU_DEP_2) | instskip(NEXT) | instid1(VALU_DEP_1)
	v_dual_fmac_f32 v187, -0.5, v8 :: v_dual_sub_f32 v8, v7, v11
	v_fmamk_f32 v7, v8, 0x3f5db3d7, v187
	v_dual_fmac_f32 v187, 0xbf5db3d7, v8 :: v_dual_add_f32 v8, v180, v13
	s_delay_alu instid0(VALU_DEP_1) | instskip(SKIP_1) | instid1(VALU_DEP_1)
	v_add_f32_e32 v11, v8, v17
	v_add_f32_e32 v8, v13, v17
	v_fma_f32 v35, -0.5, v8, v180
	v_sub_f32_e32 v8, v14, v18
	s_delay_alu instid0(VALU_DEP_1) | instskip(SKIP_1) | instid1(VALU_DEP_1)
	v_fmamk_f32 v37, v8, 0xbf5db3d7, v35
	v_dual_fmac_f32 v35, 0x3f5db3d7, v8 :: v_dual_add_f32 v8, v181, v14
	v_add_f32_e32 v12, v8, v18
	v_add_f32_e32 v8, v14, v18
	s_delay_alu instid0(VALU_DEP_1) | instskip(SKIP_1) | instid1(VALU_DEP_1)
	v_fma_f32 v36, -0.5, v8, v181
	v_sub_f32_e32 v8, v13, v17
	v_fmamk_f32 v38, v8, 0x3f5db3d7, v36
	v_fmac_f32_e32 v36, 0xbf5db3d7, v8
	v_add_f32_e32 v8, v182, v15
	s_delay_alu instid0(VALU_DEP_1) | instskip(SKIP_1) | instid1(VALU_DEP_1)
	v_add_f32_e32 v13, v8, v19
	v_add_f32_e32 v8, v15, v19
	v_fma_f32 v182, -0.5, v8, v182
	v_sub_f32_e32 v8, v16, v20
	s_delay_alu instid0(VALU_DEP_1) | instskip(SKIP_2) | instid1(VALU_DEP_1)
	v_fmamk_f32 v17, v8, 0xbf5db3d7, v182
	v_fmac_f32_e32 v182, 0x3f5db3d7, v8
	v_add_f32_e32 v8, v183, v16
	v_add_f32_e32 v14, v8, v20
	;; [unrolled: 1-line block ×3, first 2 shown]
	s_delay_alu instid0(VALU_DEP_1) | instskip(NEXT) | instid1(VALU_DEP_1)
	v_dual_fmac_f32 v183, -0.5, v8 :: v_dual_sub_f32 v8, v15, v19
	v_fmamk_f32 v18, v8, 0x3f5db3d7, v183
	v_dual_fmac_f32 v183, 0xbf5db3d7, v8 :: v_dual_add_f32 v8, v176, v21
	s_delay_alu instid0(VALU_DEP_1) | instskip(SKIP_1) | instid1(VALU_DEP_1)
	v_add_f32_e32 v15, v8, v25
	v_add_f32_e32 v8, v21, v25
	v_fma_f32 v19, -0.5, v8, v176
	v_sub_f32_e32 v8, v22, v26
	s_delay_alu instid0(VALU_DEP_1) | instskip(SKIP_1) | instid1(VALU_DEP_1)
	v_fmamk_f32 v176, v8, 0xbf5db3d7, v19
	v_dual_fmac_f32 v19, 0x3f5db3d7, v8 :: v_dual_add_f32 v8, v177, v22
	v_add_f32_e32 v16, v8, v26
	v_add_f32_e32 v8, v22, v26
	s_delay_alu instid0(VALU_DEP_1) | instskip(SKIP_1) | instid1(VALU_DEP_1)
	v_fma_f32 v20, -0.5, v8, v177
	v_sub_f32_e32 v8, v21, v25
	v_fmamk_f32 v177, v8, 0x3f5db3d7, v20
	v_fmac_f32_e32 v20, 0xbf5db3d7, v8
	v_add_f32_e32 v8, v178, v23
	s_delay_alu instid0(VALU_DEP_1) | instskip(SKIP_1) | instid1(VALU_DEP_1)
	v_add_f32_e32 v21, v8, v27
	v_add_f32_e32 v8, v23, v27
	v_fma_f32 v178, -0.5, v8, v178
	v_sub_f32_e32 v8, v24, v28
	s_delay_alu instid0(VALU_DEP_1) | instskip(SKIP_2) | instid1(VALU_DEP_1)
	v_fmamk_f32 v25, v8, 0xbf5db3d7, v178
	v_fmac_f32_e32 v178, 0x3f5db3d7, v8
	v_add_f32_e32 v8, v179, v24
	v_add_f32_e32 v22, v8, v28
	v_add_f32_e32 v8, v24, v28
	s_delay_alu instid0(VALU_DEP_1) | instskip(NEXT) | instid1(VALU_DEP_1)
	v_dual_fmac_f32 v179, -0.5, v8 :: v_dual_sub_f32 v8, v23, v27
	v_fmamk_f32 v26, v8, 0x3f5db3d7, v179
	v_dual_fmac_f32 v179, 0xbf5db3d7, v8 :: v_dual_add_f32 v8, v172, v29
	s_delay_alu instid0(VALU_DEP_1) | instskip(SKIP_2) | instid1(VALU_DEP_2)
	v_add_f32_e32 v23, v8, v0
	v_add_f32_e32 v8, v29, v0
	v_sub_f32_e32 v0, v29, v0
	v_fma_f32 v27, -0.5, v8, v172
	v_sub_f32_e32 v8, v30, v1
	s_delay_alu instid0(VALU_DEP_1) | instskip(SKIP_1) | instid1(VALU_DEP_1)
	v_fmamk_f32 v172, v8, 0xbf5db3d7, v27
	v_dual_fmac_f32 v27, 0x3f5db3d7, v8 :: v_dual_add_f32 v8, v173, v30
	v_add_f32_e32 v24, v8, v1
	v_add_f32_e32 v1, v30, v1
	;; [unrolled: 1-line block ×3, first 2 shown]
	s_delay_alu instid0(VALU_DEP_2) | instskip(SKIP_1) | instid1(VALU_DEP_2)
	v_fma_f32 v28, -0.5, v1, v173
	v_add_f32_e32 v1, v31, v2
	v_fmamk_f32 v173, v0, 0x3f5db3d7, v28
	v_fmac_f32_e32 v28, 0xbf5db3d7, v0
	v_add_f32_e32 v0, v174, v31
	s_delay_alu instid0(VALU_DEP_4) | instskip(SKIP_1) | instid1(VALU_DEP_3)
	v_fma_f32 v174, -0.5, v1, v174
	v_sub_f32_e32 v1, v32, v3
	v_add_f32_e32 v0, v0, v2
	s_delay_alu instid0(VALU_DEP_2) | instskip(SKIP_1) | instid1(VALU_DEP_1)
	v_dual_sub_f32 v2, v31, v2 :: v_dual_fmamk_f32 v29, v1, 0xbf5db3d7, v174
	v_dual_fmac_f32 v174, 0x3f5db3d7, v1 :: v_dual_add_f32 v1, v175, v32
	v_add_f32_e32 v1, v1, v3
	v_add_f32_e32 v3, v32, v3
	v_fma_f32 v32, -0.5, v8, v169
	s_delay_alu instid0(VALU_DEP_2) | instskip(NEXT) | instid1(VALU_DEP_1)
	v_dual_sub_f32 v8, v188, v192 :: v_dual_fmac_f32 v175, -0.5, v3
	v_dual_add_f32 v3, v188, v192 :: v_dual_fmamk_f32 v30, v2, 0x3f5db3d7, v175
	s_delay_alu instid0(VALU_DEP_1) | instskip(SKIP_2) | instid1(VALU_DEP_2)
	v_fma_f32 v31, -0.5, v3, v168
	v_sub_f32_e32 v3, v189, v193
	v_dual_fmac_f32 v175, 0xbf5db3d7, v2 :: v_dual_add_f32 v2, v168, v188
	v_fmamk_f32 v168, v3, 0xbf5db3d7, v31
	v_fmac_f32_e32 v31, 0x3f5db3d7, v3
	v_add_f32_e32 v3, v169, v189
	v_fmamk_f32 v169, v8, 0x3f5db3d7, v32
	v_fmac_f32_e32 v32, 0xbf5db3d7, v8
	v_add_f32_e32 v8, v170, v190
	s_delay_alu instid0(VALU_DEP_4) | instskip(NEXT) | instid1(VALU_DEP_2)
	v_dual_add_f32 v2, v2, v192 :: v_dual_add_f32 v3, v3, v193
	v_add_f32_e32 v180, v8, v194
	v_add_f32_e32 v8, v190, v194
	s_delay_alu instid0(VALU_DEP_1) | instskip(SKIP_1) | instid1(VALU_DEP_1)
	v_fma_f32 v170, -0.5, v8, v170
	v_sub_f32_e32 v8, v191, v195
	v_fmamk_f32 v188, v8, 0xbf5db3d7, v170
	v_fmac_f32_e32 v170, 0x3f5db3d7, v8
	v_add_f32_e32 v8, v171, v191
	s_delay_alu instid0(VALU_DEP_1) | instskip(SKIP_1) | instid1(VALU_DEP_1)
	v_add_f32_e32 v181, v8, v195
	v_add_f32_e32 v8, v191, v195
	v_dual_fmac_f32 v171, -0.5, v8 :: v_dual_sub_f32 v8, v190, v194
	s_delay_alu instid0(VALU_DEP_1)
	v_fmamk_f32 v189, v8, 0x3f5db3d7, v171
	v_fmac_f32_e32 v171, 0xbf5db3d7, v8
	scratch_load_b32 v8, off, off offset:288 th:TH_LOAD_LU ; 4-byte Folded Reload
	s_wait_loadcnt 0x0
	ds_store_2addr_b64 v8, v[33:34], v[4:5] offset1:1
	ds_store_b64 v8, v[184:185] offset:16
	scratch_load_b32 v4, off, off offset:284 th:TH_LOAD_LU ; 4-byte Folded Reload
	s_wait_loadcnt 0x0
	ds_store_2addr_b64 v4, v[9:10], v[6:7] offset1:1
	ds_store_b64 v4, v[186:187] offset:16
	;; [unrolled: 4-line block ×10, first 2 shown]
	global_wb scope:SCOPE_SE
	s_wait_dscnt 0x0
	s_barrier_signal -1
	s_barrier_wait -1
	global_inv scope:SCOPE_SE
	ds_load_2addr_b64 v[184:187], v68 offset1:108
	ds_load_2addr_b64 v[0:3], v51 offset0:56 offset1:164
	ds_load_2addr_b64 v[4:7], v44 offset0:112 offset1:220
	;; [unrolled: 1-line block ×8, first 2 shown]
	v_mov_b32_e32 v45, v42
	ds_load_2addr_b64 v[172:175], v208 offset0:136 offset1:244
	ds_load_2addr_b64 v[24:27], v46 offset0:64 offset1:172
	;; [unrolled: 1-line block ×4, first 2 shown]
	v_mov_b32_e32 v42, v40
	scratch_load_b128 v[37:40], off, off offset:480 th:TH_LOAD_LU ; 16-byte Folded Reload
	v_mov_b32_e32 v44, v198
	ds_load_2addr_b64 v[188:191], v196 offset0:80 offset1:188
	v_dual_mov_b32 v51, v48 :: v_dual_mov_b32 v48, v49
	v_mov_b32_e32 v49, v71
	v_mov_b32_e32 v71, v208
	ds_load_2addr_b64 v[168:171], v41 offset0:96 offset1:204
	v_mov_b32_e32 v43, v41
	global_wb scope:SCOPE_SE
	s_wait_loadcnt_dscnt 0x0
	s_barrier_signal -1
	s_barrier_wait -1
	global_inv scope:SCOPE_SE
	v_mul_f32_e32 v209, v241, v27
	v_mul_f32_e32 v41, v249, v25
	;; [unrolled: 1-line block ×3, first 2 shown]
	s_delay_alu instid0(VALU_DEP_3) | instskip(NEXT) | instid1(VALU_DEP_3)
	v_fmac_f32_e32 v209, v240, v26
	v_fmac_f32_e32 v41, v248, v24
	s_delay_alu instid0(VALU_DEP_3) | instskip(SKIP_1) | instid1(VALU_DEP_1)
	v_fmac_f32_e32 v199, v250, v28
	v_mul_f32_e32 v36, v38, v1
	v_fmac_f32_e32 v36, v37, v0
	v_mul_f32_e32 v0, v38, v0
	s_delay_alu instid0(VALU_DEP_1) | instskip(SKIP_1) | instid1(VALU_DEP_1)
	v_fma_f32 v0, v37, v1, -v0
	v_mul_f32_e32 v1, v40, v5
	v_fmac_f32_e32 v1, v39, v4
	v_mul_f32_e32 v4, v40, v4
	v_mul_f32_e32 v40, v245, v19
	s_delay_alu instid0(VALU_DEP_2) | instskip(NEXT) | instid1(VALU_DEP_2)
	v_fma_f32 v4, v39, v5, -v4
	v_dual_mul_f32 v5, v235, v3 :: v_dual_fmac_f32 v40, v244, v18
	v_mul_f32_e32 v18, v245, v18
	s_delay_alu instid0(VALU_DEP_2) | instskip(SKIP_1) | instid1(VALU_DEP_3)
	v_fmac_f32_e32 v5, v234, v2
	v_mul_f32_e32 v2, v235, v2
	v_fma_f32 v18, v244, v19, -v18
	v_mul_f32_e32 v19, v247, v23
	s_delay_alu instid0(VALU_DEP_3) | instskip(SKIP_1) | instid1(VALU_DEP_3)
	v_fma_f32 v2, v234, v3, -v2
	v_mul_f32_e32 v3, v237, v7
	v_fmac_f32_e32 v19, v246, v22
	s_delay_alu instid0(VALU_DEP_2) | instskip(SKIP_1) | instid1(VALU_DEP_1)
	v_fmac_f32_e32 v3, v236, v6
	v_mul_f32_e32 v6, v237, v6
	v_fma_f32 v6, v236, v7, -v6
	v_mul_f32_e32 v7, v231, v9
	s_delay_alu instid0(VALU_DEP_1) | instskip(SKIP_2) | instid1(VALU_DEP_2)
	v_fmac_f32_e32 v7, v230, v8
	v_mul_f32_e32 v8, v231, v8
	v_mov_b32_e32 v231, v51
	v_fma_f32 v8, v230, v9, -v8
	v_dual_mul_f32 v9, v233, v13 :: v_dual_mov_b32 v230, v48
	s_delay_alu instid0(VALU_DEP_1) | instskip(SKIP_1) | instid1(VALU_DEP_1)
	v_fmac_f32_e32 v9, v232, v12
	v_dual_mul_f32 v12, v233, v12 :: v_dual_mov_b32 v233, v46
	v_fma_f32 v12, v232, v13, -v12
	v_dual_mul_f32 v13, v227, v11 :: v_dual_mov_b32 v232, v44
	s_delay_alu instid0(VALU_DEP_1) | instskip(SKIP_1) | instid1(VALU_DEP_1)
	v_fmac_f32_e32 v13, v226, v10
	v_dual_mul_f32 v10, v227, v10 :: v_dual_mov_b32 v227, v50
	v_fma_f32 v10, v226, v11, -v10
	v_mul_f32_e32 v11, v229, v15
	s_delay_alu instid0(VALU_DEP_1) | instskip(SKIP_2) | instid1(VALU_DEP_2)
	v_dual_mov_b32 v226, v49 :: v_dual_fmac_f32 v11, v228, v14
	v_mul_f32_e32 v14, v229, v14
	v_mov_b32_e32 v229, v69
	v_fma_f32 v14, v228, v15, -v14
	v_mul_f32_e32 v15, v215, v17
	s_delay_alu instid0(VALU_DEP_1) | instskip(SKIP_2) | instid1(VALU_DEP_2)
	v_fmac_f32_e32 v15, v214, v16
	v_mul_f32_e32 v16, v215, v16
	v_mov_b32_e32 v215, v47
	v_fma_f32 v16, v214, v17, -v16
	v_mul_f32_e32 v17, v217, v21
	s_delay_alu instid0(VALU_DEP_1) | instskip(SKIP_1) | instid1(VALU_DEP_1)
	v_dual_mov_b32 v214, v45 :: v_dual_fmac_f32 v17, v216, v20
	v_dual_mul_f32 v20, v217, v20 :: v_dual_mul_f32 v217, v243, v31
	v_fma_f32 v20, v216, v21, -v20
	v_mul_f32_e32 v21, v247, v22
	s_delay_alu instid0(VALU_DEP_3) | instskip(NEXT) | instid1(VALU_DEP_2)
	v_fmac_f32_e32 v217, v242, v30
	v_fma_f32 v23, v246, v23, -v21
	v_mul_f32_e32 v21, v249, v24
	s_delay_alu instid0(VALU_DEP_1) | instskip(SKIP_1) | instid1(VALU_DEP_1)
	v_fma_f32 v198, v248, v25, -v21
	v_mul_f32_e32 v21, v251, v28
	v_fma_f32 v208, v250, v29, -v21
	v_mul_f32_e32 v21, v241, v26
	s_delay_alu instid0(VALU_DEP_1) | instskip(SKIP_1) | instid1(VALU_DEP_1)
	v_fma_f32 v216, v240, v27, -v21
	v_mul_f32_e32 v21, v243, v30
	v_fma_f32 v30, v242, v31, -v21
	v_mul_f32_e32 v31, v205, v33
	v_mul_f32_e32 v21, v205, v32
	;; [unrolled: 1-line block ×3, first 2 shown]
	s_delay_alu instid0(VALU_DEP_3) | instskip(NEXT) | instid1(VALU_DEP_3)
	v_fmac_f32_e32 v31, v204, v32
	v_fma_f32 v204, v204, v33, -v21
	v_mul_f32_e32 v21, v207, v188
	s_delay_alu instid0(VALU_DEP_4) | instskip(SKIP_1) | instid1(VALU_DEP_3)
	v_fmac_f32_e32 v205, v206, v188
	v_mul_f32_e32 v207, v201, v35
	v_fma_f32 v206, v206, v189, -v21
	v_mul_f32_e32 v21, v201, v34
	s_delay_alu instid0(VALU_DEP_3) | instskip(SKIP_1) | instid1(VALU_DEP_3)
	v_fmac_f32_e32 v207, v200, v34
	v_mul_f32_e32 v201, v203, v191
	v_fma_f32 v200, v200, v35, -v21
	v_mul_f32_e32 v21, v203, v190
	s_delay_alu instid0(VALU_DEP_3) | instskip(NEXT) | instid1(VALU_DEP_2)
	v_fmac_f32_e32 v201, v202, v190
	v_fma_f32 v202, v202, v191, -v21
	v_add_f32_e32 v21, v184, v36
	s_delay_alu instid0(VALU_DEP_1) | instskip(SKIP_1) | instid1(VALU_DEP_1)
	v_add_f32_e32 v190, v21, v1
	v_add_f32_e32 v21, v36, v1
	v_fma_f32 v184, -0.5, v21, v184
	v_sub_f32_e32 v21, v0, v4
	s_delay_alu instid0(VALU_DEP_1) | instskip(SKIP_2) | instid1(VALU_DEP_2)
	v_fmamk_f32 v194, v21, 0xbf5db3d7, v184
	v_dual_fmac_f32 v184, 0x3f5db3d7, v21 :: v_dual_add_f32 v21, v185, v0
	v_add_f32_e32 v0, v0, v4
	v_add_f32_e32 v191, v21, v4
	s_delay_alu instid0(VALU_DEP_2) | instskip(SKIP_2) | instid1(VALU_DEP_2)
	v_fma_f32 v185, -0.5, v0, v185
	v_sub_f32_e32 v0, v36, v1
	v_add_f32_e32 v1, v207, v201
	v_fmamk_f32 v195, v0, 0x3f5db3d7, v185
	v_dual_fmac_f32 v185, 0xbf5db3d7, v0 :: v_dual_add_f32 v0, v186, v5
	s_delay_alu instid0(VALU_DEP_1) | instskip(SKIP_1) | instid1(VALU_DEP_1)
	v_add_f32_e32 v188, v0, v3
	v_add_f32_e32 v0, v5, v3
	v_fma_f32 v186, -0.5, v0, v186
	v_sub_f32_e32 v0, v2, v6
	s_delay_alu instid0(VALU_DEP_1) | instskip(SKIP_2) | instid1(VALU_DEP_1)
	v_fmamk_f32 v192, v0, 0xbf5db3d7, v186
	v_fmac_f32_e32 v186, 0x3f5db3d7, v0
	v_add_f32_e32 v0, v187, v2
	v_add_f32_e32 v189, v0, v6
	;; [unrolled: 1-line block ×3, first 2 shown]
	s_delay_alu instid0(VALU_DEP_1) | instskip(SKIP_1) | instid1(VALU_DEP_2)
	v_dual_fmac_f32 v187, -0.5, v0 :: v_dual_sub_f32 v0, v5, v3
	v_add_f32_e32 v3, v200, v202
	v_fmamk_f32 v193, v0, 0x3f5db3d7, v187
	v_dual_fmac_f32 v187, 0xbf5db3d7, v0 :: v_dual_add_f32 v0, v180, v7
	s_delay_alu instid0(VALU_DEP_1) | instskip(SKIP_1) | instid1(VALU_DEP_1)
	v_add_f32_e32 v38, v0, v9
	v_add_f32_e32 v0, v7, v9
	v_fma_f32 v36, -0.5, v0, v180
	v_sub_f32_e32 v0, v8, v12
	s_delay_alu instid0(VALU_DEP_1) | instskip(SKIP_2) | instid1(VALU_DEP_1)
	v_fmamk_f32 v180, v0, 0xbf5db3d7, v36
	v_fmac_f32_e32 v36, 0x3f5db3d7, v0
	v_add_f32_e32 v0, v181, v8
	v_add_f32_e32 v39, v0, v12
	;; [unrolled: 1-line block ×3, first 2 shown]
	s_delay_alu instid0(VALU_DEP_1) | instskip(SKIP_1) | instid1(VALU_DEP_1)
	v_fma_f32 v37, -0.5, v0, v181
	v_sub_f32_e32 v0, v7, v9
	v_fmamk_f32 v181, v0, 0x3f5db3d7, v37
	v_dual_fmac_f32 v37, 0xbf5db3d7, v0 :: v_dual_add_f32 v0, v182, v13
	s_delay_alu instid0(VALU_DEP_1) | instskip(SKIP_1) | instid1(VALU_DEP_1)
	v_add_f32_e32 v32, v0, v11
	v_add_f32_e32 v0, v13, v11
	v_fma_f32 v182, -0.5, v0, v182
	v_sub_f32_e32 v0, v10, v14
	s_delay_alu instid0(VALU_DEP_1) | instskip(SKIP_2) | instid1(VALU_DEP_1)
	v_fmamk_f32 v34, v0, 0xbf5db3d7, v182
	v_fmac_f32_e32 v182, 0x3f5db3d7, v0
	v_add_f32_e32 v0, v183, v10
	v_add_f32_e32 v33, v0, v14
	;; [unrolled: 1-line block ×3, first 2 shown]
	s_delay_alu instid0(VALU_DEP_1) | instskip(NEXT) | instid1(VALU_DEP_1)
	v_dual_fmac_f32 v183, -0.5, v0 :: v_dual_sub_f32 v0, v13, v11
	v_fmamk_f32 v35, v0, 0x3f5db3d7, v183
	v_dual_fmac_f32 v183, 0xbf5db3d7, v0 :: v_dual_add_f32 v0, v176, v15
	s_delay_alu instid0(VALU_DEP_1) | instskip(SKIP_1) | instid1(VALU_DEP_1)
	v_add_f32_e32 v26, v0, v17
	v_add_f32_e32 v0, v15, v17
	v_fma_f32 v24, -0.5, v0, v176
	v_sub_f32_e32 v0, v16, v20
	s_delay_alu instid0(VALU_DEP_1) | instskip(SKIP_2) | instid1(VALU_DEP_1)
	v_fmamk_f32 v28, v0, 0xbf5db3d7, v24
	v_fmac_f32_e32 v24, 0x3f5db3d7, v0
	v_add_f32_e32 v0, v177, v16
	v_add_f32_e32 v27, v0, v20
	;; [unrolled: 1-line block ×3, first 2 shown]
	s_delay_alu instid0(VALU_DEP_1) | instskip(SKIP_1) | instid1(VALU_DEP_1)
	v_fma_f32 v25, -0.5, v0, v177
	v_sub_f32_e32 v0, v15, v17
	v_fmamk_f32 v29, v0, 0x3f5db3d7, v25
	v_fmac_f32_e32 v25, 0xbf5db3d7, v0
	v_add_f32_e32 v0, v178, v40
	s_delay_alu instid0(VALU_DEP_1) | instskip(SKIP_1) | instid1(VALU_DEP_1)
	v_add_f32_e32 v20, v0, v19
	v_add_f32_e32 v0, v40, v19
	v_fma_f32 v178, -0.5, v0, v178
	v_sub_f32_e32 v0, v18, v23
	s_delay_alu instid0(VALU_DEP_1) | instskip(SKIP_2) | instid1(VALU_DEP_1)
	v_fmamk_f32 v22, v0, 0xbf5db3d7, v178
	v_fmac_f32_e32 v178, 0x3f5db3d7, v0
	v_add_f32_e32 v0, v179, v18
	v_add_f32_e32 v21, v0, v23
	;; [unrolled: 1-line block ×3, first 2 shown]
	s_delay_alu instid0(VALU_DEP_1) | instskip(NEXT) | instid1(VALU_DEP_1)
	v_dual_fmac_f32 v179, -0.5, v0 :: v_dual_sub_f32 v0, v40, v19
	v_fmamk_f32 v23, v0, 0x3f5db3d7, v179
	v_dual_fmac_f32 v179, 0xbf5db3d7, v0 :: v_dual_add_f32 v0, v172, v41
	s_delay_alu instid0(VALU_DEP_1) | instskip(SKIP_1) | instid1(VALU_DEP_1)
	v_add_f32_e32 v16, v0, v199
	v_add_f32_e32 v0, v41, v199
	v_fma_f32 v14, -0.5, v0, v172
	v_sub_f32_e32 v0, v198, v208
	s_delay_alu instid0(VALU_DEP_1) | instskip(SKIP_2) | instid1(VALU_DEP_1)
	v_fmamk_f32 v18, v0, 0xbf5db3d7, v14
	v_fmac_f32_e32 v14, 0x3f5db3d7, v0
	v_add_f32_e32 v0, v173, v198
	v_add_f32_e32 v17, v0, v208
	;; [unrolled: 1-line block ×3, first 2 shown]
	s_delay_alu instid0(VALU_DEP_1) | instskip(SKIP_1) | instid1(VALU_DEP_1)
	v_fma_f32 v15, -0.5, v0, v173
	v_sub_f32_e32 v0, v41, v199
	v_fmamk_f32 v19, v0, 0x3f5db3d7, v15
	v_dual_fmac_f32 v15, 0xbf5db3d7, v0 :: v_dual_add_f32 v0, v174, v209
	s_delay_alu instid0(VALU_DEP_1) | instskip(SKIP_1) | instid1(VALU_DEP_1)
	v_add_f32_e32 v10, v0, v217
	v_add_f32_e32 v0, v209, v217
	v_fma_f32 v174, -0.5, v0, v174
	v_sub_f32_e32 v0, v216, v30
	s_delay_alu instid0(VALU_DEP_1) | instskip(SKIP_2) | instid1(VALU_DEP_1)
	v_fmamk_f32 v12, v0, 0xbf5db3d7, v174
	v_fmac_f32_e32 v174, 0x3f5db3d7, v0
	v_add_f32_e32 v0, v175, v216
	v_add_f32_e32 v11, v0, v30
	;; [unrolled: 1-line block ×3, first 2 shown]
	v_sub_f32_e32 v30, v207, v201
	s_delay_alu instid0(VALU_DEP_2) | instskip(SKIP_1) | instid1(VALU_DEP_1)
	v_dual_mov_b32 v216, v42 :: v_dual_fmac_f32 v175, -0.5, v0
	v_dual_sub_f32 v0, v209, v217 :: v_dual_mov_b32 v217, v43
	v_fmamk_f32 v13, v0, 0x3f5db3d7, v175
	v_dual_fmac_f32 v175, 0xbf5db3d7, v0 :: v_dual_add_f32 v0, v168, v31
	s_delay_alu instid0(VALU_DEP_1) | instskip(SKIP_1) | instid1(VALU_DEP_1)
	v_add_f32_e32 v6, v0, v205
	v_add_f32_e32 v0, v31, v205
	v_fma_f32 v4, -0.5, v0, v168
	v_sub_f32_e32 v0, v204, v206
	s_delay_alu instid0(VALU_DEP_1) | instskip(SKIP_2) | instid1(VALU_DEP_1)
	v_fmamk_f32 v8, v0, 0xbf5db3d7, v4
	v_fmac_f32_e32 v4, 0x3f5db3d7, v0
	v_add_f32_e32 v0, v169, v204
	v_add_f32_e32 v7, v0, v206
	;; [unrolled: 1-line block ×3, first 2 shown]
	s_delay_alu instid0(VALU_DEP_1) | instskip(SKIP_1) | instid1(VALU_DEP_1)
	v_fma_f32 v5, -0.5, v0, v169
	v_sub_f32_e32 v0, v31, v205
	v_fmamk_f32 v9, v0, 0x3f5db3d7, v5
	v_dual_fmac_f32 v5, 0xbf5db3d7, v0 :: v_dual_add_f32 v0, v170, v207
	v_fma_f32 v170, -0.5, v1, v170
	v_sub_f32_e32 v1, v200, v202
	s_delay_alu instid0(VALU_DEP_3) | instskip(NEXT) | instid1(VALU_DEP_2)
	v_add_f32_e32 v0, v0, v201
	v_fmamk_f32 v2, v1, 0xbf5db3d7, v170
	v_dual_fmac_f32 v170, 0x3f5db3d7, v1 :: v_dual_add_f32 v1, v171, v200
	v_fmac_f32_e32 v171, -0.5, v3
	s_delay_alu instid0(VALU_DEP_2) | instskip(NEXT) | instid1(VALU_DEP_2)
	v_add_f32_e32 v1, v1, v202
	v_fmamk_f32 v3, v30, 0x3f5db3d7, v171
	v_fmac_f32_e32 v171, 0xbf5db3d7, v30
	scratch_load_b32 v30, off, off offset:312 th:TH_LOAD_LU ; 4-byte Folded Reload
	s_wait_loadcnt 0x0
	ds_store_2addr_b64 v30, v[190:191], v[194:195] offset1:3
	ds_store_b64 v30, v[184:185] offset:48
	scratch_load_b32 v30, off, off offset:308 th:TH_LOAD_LU ; 4-byte Folded Reload
	s_wait_loadcnt 0x0
	ds_store_2addr_b64 v30, v[188:189], v[192:193] offset1:3
	ds_store_b64 v30, v[186:187] offset:48
	;; [unrolled: 4-line block ×10, first 2 shown]
	global_wb scope:SCOPE_SE
	s_wait_dscnt 0x0
	s_barrier_signal -1
	s_barrier_wait -1
	global_inv scope:SCOPE_SE
	ds_load_2addr_b64 v[4:7], v68 offset1:108
	ds_load_2addr_b64 v[0:3], v51 offset0:88 offset1:196
	ds_load_2addr_b64 v[8:11], v71 offset0:136 offset1:244
	ds_load_2addr_b64 v[168:171], v43 offset0:96 offset1:204
	ds_load_2addr_b64 v[22:25], v48 offset0:16 offset1:124
	ds_load_2addr_b64 v[172:175], v47 offset0:104 offset1:212
	ds_load_2addr_b64 v[28:31], v42 offset0:24 offset1:132
	ds_load_2addr_b64 v[176:179], v50 offset0:112 offset1:220
	ds_load_2addr_b64 v[180:183], v45 offset0:32 offset1:140
	ds_load_2addr_b64 v[184:187], v44 offset0:120 offset1:228
	scratch_load_b64 v[42:43], off, off offset:472 th:TH_LOAD_LU ; 8-byte Folded Reload
	ds_load_2addr_b64 v[202:205], v69 offset0:72 offset1:180
	ds_load_2addr_b64 v[206:209], v196 offset0:80 offset1:188
	;; [unrolled: 1-line block ×5, first 2 shown]
	s_wait_dscnt 0xd
	v_mul_f32_e32 v19, v53, v3
	s_wait_dscnt 0xc
	v_mul_f32_e32 v16, v95, v11
	;; [unrolled: 2-line block ×4, first 2 shown]
	v_dual_mul_f32 v18, v91, v25 :: v_dual_fmac_f32 v19, v52, v2
	v_mul_f32_e32 v2, v53, v2
	s_wait_dscnt 0x8
	v_mul_f32_e32 v44, v221, v29
	v_fmac_f32_e32 v48, v212, v22
	s_wait_dscnt 0x4
	v_dual_fmac_f32 v18, v90, v24 :: v_dual_mul_f32 v13, v81, v203
	v_fma_f32 v21, v52, v3, -v2
	v_mul_f32_e32 v52, v55, v9
	v_mul_f32_e32 v2, v55, v8
	v_fmac_f32_e32 v44, v220, v28
	v_fmac_f32_e32 v13, v80, v202
	v_mul_f32_e32 v20, v83, v182
	v_fmac_f32_e32 v52, v54, v8
	v_fma_f32 v37, v54, v9, -v2
	scratch_load_b64 v[8:9], off, off offset:332 th:TH_LOAD_LU ; 8-byte Folded Reload
	v_mul_f32_e32 v2, v211, v170
	v_fma_f32 v20, v82, v183, -v20
	s_wait_dscnt 0x0
	v_mul_f32_e32 v12, v85, v199
	v_dual_fmac_f32 v16, v94, v10 :: v_dual_mul_f32 v41, v225, v181
	v_fma_f32 v26, v210, v171, -v2
	v_mul_f32_e32 v2, v213, v22
	v_mul_f32_e32 v22, v87, v31
	v_fmac_f32_e32 v12, v84, v198
	v_fmac_f32_e32 v41, v224, v180
	v_mul_f32_e32 v33, v219, v175
	v_fma_f32 v38, v212, v23, -v2
	v_mul_f32_e32 v2, v219, v174
	v_dual_fmac_f32 v22, v86, v30 :: v_dual_mul_f32 v23, v83, v183
	v_dual_sub_f32 v46, v41, v44 :: v_dual_sub_f32 v47, v44, v41
	s_delay_alu instid0(VALU_DEP_3) | instskip(NEXT) | instid1(VALU_DEP_3)
	v_fma_f32 v27, v218, v175, -v2
	v_dual_mul_f32 v2, v221, v28 :: v_dual_fmac_f32 v23, v82, v182
	v_mul_f32_e32 v82, v79, v169
	v_dual_mul_f32 v34, v223, v179 :: v_dual_fmac_f32 v33, v218, v174
	s_delay_alu instid0(VALU_DEP_3) | instskip(SKIP_2) | instid1(VALU_DEP_4)
	v_fma_f32 v39, v220, v29, -v2
	v_mul_f32_e32 v2, v223, v178
	v_fmac_f32_e32 v32, v210, v170
	v_fmac_f32_e32 v34, v222, v178
	;; [unrolled: 1-line block ×3, first 2 shown]
	v_sub_f32_e32 v45, v38, v39
	v_fma_f32 v28, v222, v179, -v2
	v_mul_f32_e32 v2, v225, v180
	v_mul_f32_e32 v3, v93, v188
	s_delay_alu instid0(VALU_DEP_2) | instskip(NEXT) | instid1(VALU_DEP_2)
	v_fma_f32 v40, v224, v181, -v2
	v_fma_f32 v3, v92, v189, -v3
	s_wait_loadcnt 0x0
	v_mul_f32_e32 v35, v9, v187
	v_dual_mul_f32 v2, v9, v186 :: v_dual_mul_f32 v9, v91, v24
	s_delay_alu instid0(VALU_DEP_2) | instskip(NEXT) | instid1(VALU_DEP_2)
	v_fmac_f32_e32 v35, v8, v186
	v_fma_f32 v29, v8, v187, -v2
	v_mul_f32_e32 v8, v95, v10
	s_delay_alu instid0(VALU_DEP_4)
	v_fma_f32 v15, v90, v25, -v9
	v_mul_f32_e32 v9, v85, v198
	v_mul_f32_e32 v10, v89, v193
	;; [unrolled: 1-line block ×3, first 2 shown]
	v_fma_f32 v14, v94, v11, -v8
	v_mul_f32_e32 v11, v87, v30
	v_fma_f32 v9, v84, v199, -v9
	v_mul_f32_e32 v84, v75, v173
	v_mul_f32_e32 v8, v89, v192
	v_fmac_f32_e32 v10, v88, v192
	v_fma_f32 v17, v86, v31, -v11
	scratch_load_b64 v[30:31], off, off offset:340 th:TH_LOAD_LU ; 8-byte Folded Reload
	v_dual_mul_f32 v11, v81, v202 :: v_dual_fmac_f32 v84, v74, v172
	v_fma_f32 v8, v88, v193, -v8
	v_mul_f32_e32 v89, v43, v209
	v_mul_f32_e32 v87, v67, v185
	s_delay_alu instid0(VALU_DEP_4) | instskip(SKIP_4) | instid1(VALU_DEP_4)
	v_fma_f32 v11, v80, v203, -v11
	v_mul_f32_e32 v80, v77, v191
	v_fmac_f32_e32 v2, v92, v188
	v_fmac_f32_e32 v89, v42, v208
	v_dual_fmac_f32 v87, v66, v184 :: v_dual_mul_f32 v86, v255, v177
	v_fmac_f32_e32 v80, v76, v190
	global_wb scope:SCOPE_SE
	s_wait_loadcnt 0x0
	s_barrier_signal -1
	s_barrier_wait -1
	v_fmac_f32_e32 v86, v254, v176
	global_inv scope:SCOPE_SE
	v_mul_f32_e32 v25, v31, v207
	v_mul_f32_e32 v24, v31, v206
	s_delay_alu instid0(VALU_DEP_2) | instskip(NEXT) | instid1(VALU_DEP_2)
	v_fmac_f32_e32 v25, v30, v206
	v_fma_f32 v24, v30, v207, -v24
	v_mul_f32_e32 v30, v77, v190
	v_mul_f32_e32 v77, v73, v195
	s_delay_alu instid0(VALU_DEP_2) | instskip(NEXT) | instid1(VALU_DEP_2)
	v_fma_f32 v76, v76, v191, -v30
	v_dual_mul_f32 v30, v79, v168 :: v_dual_fmac_f32 v77, v72, v194
	s_delay_alu instid0(VALU_DEP_1) | instskip(SKIP_2) | instid1(VALU_DEP_2)
	v_fma_f32 v79, v78, v169, -v30
	v_mul_f32_e32 v30, v73, v194
	v_mul_f32_e32 v78, v65, v205
	v_fma_f32 v72, v72, v195, -v30
	v_mul_f32_e32 v30, v75, v172
	s_delay_alu instid0(VALU_DEP_3) | instskip(NEXT) | instid1(VALU_DEP_2)
	v_dual_fmac_f32 v78, v64, v204 :: v_dual_mul_f32 v75, v253, v201
	v_fma_f32 v81, v74, v173, -v30
	v_mul_f32_e32 v30, v253, v200
	s_delay_alu instid0(VALU_DEP_3) | instskip(NEXT) | instid1(VALU_DEP_2)
	v_fmac_f32_e32 v75, v252, v200
	v_fma_f32 v73, v252, v201, -v30
	v_mul_f32_e32 v30, v255, v176
	s_delay_alu instid0(VALU_DEP_1) | instskip(SKIP_1) | instid1(VALU_DEP_1)
	v_fma_f32 v83, v254, v177, -v30
	v_mul_f32_e32 v30, v65, v204
	v_fma_f32 v74, v64, v205, -v30
	v_mul_f32_e32 v30, v67, v184
	s_delay_alu instid0(VALU_DEP_1) | instskip(SKIP_2) | instid1(VALU_DEP_2)
	v_fma_f32 v85, v66, v185, -v30
	v_mul_f32_e32 v30, v43, v208
	v_sub_f32_e32 v43, v37, v40
	v_fma_f32 v88, v42, v209, -v30
	v_add_f32_e32 v30, v4, v52
	v_sub_f32_e32 v42, v52, v48
	s_delay_alu instid0(VALU_DEP_2) | instskip(NEXT) | instid1(VALU_DEP_2)
	v_add_f32_e32 v30, v30, v48
	v_add_f32_e32 v42, v42, v46
	v_sub_f32_e32 v46, v48, v52
	s_delay_alu instid0(VALU_DEP_3) | instskip(NEXT) | instid1(VALU_DEP_2)
	v_add_f32_e32 v30, v30, v44
	v_add_f32_e32 v46, v46, v47
	s_delay_alu instid0(VALU_DEP_2) | instskip(SKIP_2) | instid1(VALU_DEP_3)
	v_dual_add_f32 v31, v30, v41 :: v_dual_add_f32 v30, v48, v44
	v_sub_f32_e32 v44, v48, v44
	v_sub_f32_e32 v48, v40, v39
	v_fma_f32 v30, -0.5, v30, v4
	s_delay_alu instid0(VALU_DEP_1) | instskip(SKIP_1) | instid1(VALU_DEP_2)
	v_fmamk_f32 v36, v43, 0xbf737871, v30
	v_fmac_f32_e32 v30, 0x3f737871, v43
	v_fmac_f32_e32 v36, 0xbf167918, v45
	s_delay_alu instid0(VALU_DEP_2) | instskip(NEXT) | instid1(VALU_DEP_2)
	v_fmac_f32_e32 v30, 0x3f167918, v45
	v_fmac_f32_e32 v36, 0x3e9e377a, v42
	s_delay_alu instid0(VALU_DEP_2) | instskip(SKIP_2) | instid1(VALU_DEP_2)
	v_fmac_f32_e32 v30, 0x3e9e377a, v42
	v_add_f32_e32 v42, v52, v41
	v_sub_f32_e32 v41, v52, v41
	v_fma_f32 v4, -0.5, v42, v4
	s_delay_alu instid0(VALU_DEP_1) | instskip(SKIP_1) | instid1(VALU_DEP_2)
	v_fmamk_f32 v42, v45, 0x3f737871, v4
	v_fmac_f32_e32 v4, 0xbf737871, v45
	v_fmac_f32_e32 v42, 0xbf167918, v43
	s_delay_alu instid0(VALU_DEP_2) | instskip(NEXT) | instid1(VALU_DEP_2)
	v_dual_fmac_f32 v4, 0x3f167918, v43 :: v_dual_add_f32 v43, v5, v37
	v_fmac_f32_e32 v42, 0x3e9e377a, v46
	s_delay_alu instid0(VALU_DEP_2) | instskip(NEXT) | instid1(VALU_DEP_3)
	v_fmac_f32_e32 v4, 0x3e9e377a, v46
	v_add_f32_e32 v43, v43, v38
	s_delay_alu instid0(VALU_DEP_1) | instskip(NEXT) | instid1(VALU_DEP_1)
	v_dual_sub_f32 v46, v37, v38 :: v_dual_add_f32 v43, v43, v39
	v_add_f32_e32 v46, v46, v48
	s_delay_alu instid0(VALU_DEP_2) | instskip(SKIP_1) | instid1(VALU_DEP_1)
	v_dual_sub_f32 v48, v34, v35 :: v_dual_add_f32 v45, v43, v40
	v_add_f32_e32 v43, v38, v39
	v_fma_f32 v43, -0.5, v43, v5
	s_delay_alu instid0(VALU_DEP_1) | instskip(SKIP_1) | instid1(VALU_DEP_2)
	v_fmamk_f32 v47, v41, 0x3f737871, v43
	v_fmac_f32_e32 v43, 0xbf737871, v41
	v_fmac_f32_e32 v47, 0x3f167918, v44
	s_delay_alu instid0(VALU_DEP_2) | instskip(NEXT) | instid1(VALU_DEP_2)
	v_fmac_f32_e32 v43, 0xbf167918, v44
	v_fmac_f32_e32 v47, 0x3e9e377a, v46
	s_delay_alu instid0(VALU_DEP_2) | instskip(SKIP_2) | instid1(VALU_DEP_3)
	v_dual_fmac_f32 v43, 0x3e9e377a, v46 :: v_dual_add_f32 v46, v37, v40
	v_dual_sub_f32 v37, v38, v37 :: v_dual_sub_f32 v38, v39, v40
	v_sub_f32_e32 v40, v27, v28
	v_fma_f32 v5, -0.5, v46, v5
	v_sub_f32_e32 v46, v35, v34
	s_delay_alu instid0(VALU_DEP_4) | instskip(NEXT) | instid1(VALU_DEP_3)
	v_add_f32_e32 v37, v37, v38
	v_dual_add_f32 v38, v33, v34 :: v_dual_fmamk_f32 v49, v44, 0xbf737871, v5
	v_fmac_f32_e32 v5, 0x3f737871, v44
	s_delay_alu instid0(VALU_DEP_2) | instskip(SKIP_1) | instid1(VALU_DEP_4)
	v_fma_f32 v44, -0.5, v38, v19
	v_sub_f32_e32 v38, v26, v29
	v_fmac_f32_e32 v49, 0x3f167918, v41
	s_delay_alu instid0(VALU_DEP_4) | instskip(SKIP_1) | instid1(VALU_DEP_4)
	v_fmac_f32_e32 v5, 0xbf167918, v41
	v_sub_f32_e32 v41, v32, v33
	v_fmamk_f32 v39, v38, 0xbf737871, v44
	v_fmac_f32_e32 v44, 0x3f737871, v38
	v_fmac_f32_e32 v49, 0x3e9e377a, v37
	s_delay_alu instid0(VALU_DEP_4) | instskip(SKIP_4) | instid1(VALU_DEP_3)
	v_add_f32_e32 v41, v41, v46
	v_fmac_f32_e32 v5, 0x3e9e377a, v37
	v_fmac_f32_e32 v39, 0xbf167918, v40
	v_fmac_f32_e32 v44, 0x3f167918, v40
	v_add_f32_e32 v37, v19, v32
	v_dual_sub_f32 v46, v33, v32 :: v_dual_fmac_f32 v39, 0x3e9e377a, v41
	s_delay_alu instid0(VALU_DEP_3) | instskip(NEXT) | instid1(VALU_DEP_2)
	v_dual_fmac_f32 v44, 0x3e9e377a, v41 :: v_dual_add_f32 v41, v32, v35
	v_dual_add_f32 v37, v37, v33 :: v_dual_add_f32 v46, v46, v48
	v_dual_sub_f32 v32, v32, v35 :: v_dual_sub_f32 v33, v33, v34
	s_delay_alu instid0(VALU_DEP_3) | instskip(NEXT) | instid1(VALU_DEP_3)
	v_fmac_f32_e32 v19, -0.5, v41
	v_dual_add_f32 v37, v37, v34 :: v_dual_sub_f32 v34, v26, v27
	s_delay_alu instid0(VALU_DEP_2) | instskip(SKIP_1) | instid1(VALU_DEP_3)
	v_fmamk_f32 v41, v40, 0x3f737871, v19
	v_fmac_f32_e32 v19, 0xbf737871, v40
	v_add_f32_e32 v37, v37, v35
	s_delay_alu instid0(VALU_DEP_3) | instskip(NEXT) | instid1(VALU_DEP_3)
	v_fmac_f32_e32 v41, 0xbf167918, v38
	v_fmac_f32_e32 v19, 0x3f167918, v38
	v_add_f32_e32 v38, v21, v26
	s_delay_alu instid0(VALU_DEP_4) | instskip(NEXT) | instid1(VALU_DEP_4)
	v_add_f32_e32 v64, v31, v37
	v_dual_sub_f32 v54, v31, v37 :: v_dual_fmac_f32 v41, 0x3e9e377a, v46
	s_delay_alu instid0(VALU_DEP_3) | instskip(NEXT) | instid1(VALU_DEP_1)
	v_dual_fmac_f32 v19, 0x3e9e377a, v46 :: v_dual_add_f32 v38, v38, v27
	v_add_f32_e32 v38, v38, v28
	s_delay_alu instid0(VALU_DEP_1) | instskip(NEXT) | instid1(VALU_DEP_1)
	v_dual_add_f32 v51, v38, v29 :: v_dual_add_f32 v38, v27, v28
	v_add_f32_e32 v65, v45, v51
	s_delay_alu instid0(VALU_DEP_2) | instskip(SKIP_2) | instid1(VALU_DEP_3)
	v_fma_f32 v46, -0.5, v38, v21
	v_sub_f32_e32 v38, v29, v28
	v_sub_f32_e32 v55, v45, v51
	v_fmamk_f32 v35, v32, 0x3f737871, v46
	v_fmac_f32_e32 v46, 0xbf737871, v32
	s_delay_alu instid0(VALU_DEP_2) | instskip(NEXT) | instid1(VALU_DEP_2)
	v_dual_add_f32 v34, v34, v38 :: v_dual_fmac_f32 v35, 0x3f167918, v33
	v_fmac_f32_e32 v46, 0xbf167918, v33
	s_delay_alu instid0(VALU_DEP_2) | instskip(NEXT) | instid1(VALU_DEP_2)
	v_fmac_f32_e32 v35, 0x3e9e377a, v34
	v_fmac_f32_e32 v46, 0x3e9e377a, v34
	v_add_f32_e32 v34, v26, v29
	v_dual_sub_f32 v26, v27, v26 :: v_dual_sub_f32 v27, v28, v29
	s_delay_alu instid0(VALU_DEP_3) | instskip(NEXT) | instid1(VALU_DEP_2)
	v_mul_f32_e32 v29, 0xbf167918, v46
	v_dual_fmac_f32 v21, -0.5, v34 :: v_dual_add_f32 v26, v26, v27
	s_delay_alu instid0(VALU_DEP_2) | instskip(NEXT) | instid1(VALU_DEP_2)
	v_fmac_f32_e32 v29, 0xbf4f1bbd, v44
	v_fmamk_f32 v34, v33, 0xbf737871, v21
	v_fmac_f32_e32 v21, 0x3f737871, v33
	s_delay_alu instid0(VALU_DEP_3) | instskip(NEXT) | instid1(VALU_DEP_3)
	v_sub_f32_e32 v48, v30, v29
	v_fmac_f32_e32 v34, 0x3f167918, v32
	s_delay_alu instid0(VALU_DEP_3) | instskip(NEXT) | instid1(VALU_DEP_2)
	v_dual_fmac_f32 v21, 0xbf167918, v32 :: v_dual_add_f32 v32, v30, v29
	v_dual_sub_f32 v29, v22, v23 :: v_dual_fmac_f32 v34, 0x3e9e377a, v26
	s_delay_alu instid0(VALU_DEP_2) | instskip(SKIP_2) | instid1(VALU_DEP_3)
	v_fmac_f32_e32 v21, 0x3e9e377a, v26
	v_mul_f32_e32 v26, 0xbf167918, v35
	v_mul_f32_e32 v35, 0x3f4f1bbd, v35
	v_dual_mul_f32 v27, 0xbf737871, v34 :: v_dual_mul_f32 v28, 0xbf737871, v21
	v_mul_f32_e32 v21, 0xbe9e377a, v21
	s_delay_alu instid0(VALU_DEP_3) | instskip(NEXT) | instid1(VALU_DEP_3)
	v_fmac_f32_e32 v35, 0x3f167918, v39
	v_dual_mul_f32 v34, 0x3e9e377a, v34 :: v_dual_fmac_f32 v27, 0x3e9e377a, v41
	s_delay_alu instid0(VALU_DEP_4) | instskip(NEXT) | instid1(VALU_DEP_4)
	v_fmac_f32_e32 v28, 0xbe9e377a, v19
	v_fmac_f32_e32 v21, 0x3f737871, v19
	v_mul_f32_e32 v19, 0xbf4f1bbd, v46
	s_delay_alu instid0(VALU_DEP_4) | instskip(SKIP_1) | instid1(VALU_DEP_4)
	v_dual_add_f32 v67, v47, v35 :: v_dual_fmac_f32 v34, 0x3f737871, v41
	v_sub_f32_e32 v51, v47, v35
	v_add_f32_e32 v41, v5, v21
	s_delay_alu instid0(VALU_DEP_4) | instskip(SKIP_3) | instid1(VALU_DEP_4)
	v_fmac_f32_e32 v19, 0x3f167918, v44
	v_sub_f32_e32 v47, v5, v21
	v_dual_add_f32 v5, v18, v22 :: v_dual_fmac_f32 v26, 0x3f4f1bbd, v39
	v_add_f32_e32 v39, v49, v34
	v_add_f32_e32 v33, v43, v19
	v_sub_f32_e32 v53, v49, v34
	v_sub_f32_e32 v49, v43, v19
	v_fma_f32 v5, -0.5, v5, v6
	v_dual_sub_f32 v19, v14, v20 :: v_dual_add_f32 v66, v36, v26
	v_add_f32_e32 v38, v42, v27
	v_add_f32_e32 v40, v4, v28
	v_sub_f32_e32 v50, v36, v26
	v_sub_f32_e32 v52, v42, v27
	v_dual_sub_f32 v46, v4, v28 :: v_dual_fmamk_f32 v21, v19, 0xbf737871, v5
	v_dual_sub_f32 v26, v15, v17 :: v_dual_sub_f32 v27, v16, v18
	v_dual_sub_f32 v28, v23, v22 :: v_dual_fmac_f32 v5, 0x3f737871, v19
	s_delay_alu instid0(VALU_DEP_2) | instskip(NEXT) | instid1(VALU_DEP_2)
	v_dual_add_f32 v4, v6, v16 :: v_dual_fmac_f32 v21, 0xbf167918, v26
	v_add_f32_e32 v27, v27, v28
	s_delay_alu instid0(VALU_DEP_3) | instskip(NEXT) | instid1(VALU_DEP_3)
	v_fmac_f32_e32 v5, 0x3f167918, v26
	v_add_f32_e32 v4, v4, v18
	v_sub_f32_e32 v28, v18, v16
	s_delay_alu instid0(VALU_DEP_4) | instskip(NEXT) | instid1(VALU_DEP_4)
	v_dual_sub_f32 v18, v18, v22 :: v_dual_fmac_f32 v21, 0x3e9e377a, v27
	v_fmac_f32_e32 v5, 0x3e9e377a, v27
	v_add_f32_e32 v27, v16, v23
	v_add_f32_e32 v4, v4, v22
	v_sub_f32_e32 v16, v16, v23
	v_sub_f32_e32 v22, v14, v15
	v_add_f32_e32 v28, v28, v29
	v_fma_f32 v6, -0.5, v27, v6
	s_delay_alu instid0(VALU_DEP_1) | instskip(SKIP_1) | instid1(VALU_DEP_2)
	v_dual_add_f32 v4, v4, v23 :: v_dual_fmamk_f32 v27, v26, 0x3f737871, v6
	v_fmac_f32_e32 v6, 0xbf737871, v26
	v_dual_add_f32 v26, v15, v17 :: v_dual_fmac_f32 v27, 0xbf167918, v19
	s_delay_alu instid0(VALU_DEP_2) | instskip(NEXT) | instid1(VALU_DEP_2)
	v_fmac_f32_e32 v6, 0x3f167918, v19
	v_fma_f32 v90, -0.5, v26, v7
	v_dual_sub_f32 v26, v20, v17 :: v_dual_add_f32 v19, v7, v14
	s_delay_alu instid0(VALU_DEP_4) | instskip(NEXT) | instid1(VALU_DEP_4)
	v_fmac_f32_e32 v27, 0x3e9e377a, v28
	v_fmac_f32_e32 v6, 0x3e9e377a, v28
	s_delay_alu instid0(VALU_DEP_4) | instskip(SKIP_2) | instid1(VALU_DEP_3)
	v_fmamk_f32 v23, v16, 0x3f737871, v90
	v_fmac_f32_e32 v90, 0xbf737871, v16
	v_dual_add_f32 v22, v22, v26 :: v_dual_add_f32 v19, v19, v15
	v_dual_sub_f32 v26, v13, v25 :: v_dual_fmac_f32 v23, 0x3f167918, v18
	s_delay_alu instid0(VALU_DEP_2) | instskip(NEXT) | instid1(VALU_DEP_2)
	v_dual_fmac_f32 v90, 0xbf167918, v18 :: v_dual_add_f32 v19, v19, v17
	v_fmac_f32_e32 v23, 0x3e9e377a, v22
	s_delay_alu instid0(VALU_DEP_2) | instskip(SKIP_3) | instid1(VALU_DEP_3)
	v_fmac_f32_e32 v90, 0x3e9e377a, v22
	v_add_f32_e32 v22, v14, v20
	v_dual_sub_f32 v14, v15, v14 :: v_dual_sub_f32 v15, v17, v20
	v_add_f32_e32 v19, v19, v20
	v_dual_sub_f32 v20, v10, v12 :: v_dual_fmac_f32 v7, -0.5, v22
	v_sub_f32_e32 v22, v25, v13
	s_delay_alu instid0(VALU_DEP_4) | instskip(NEXT) | instid1(VALU_DEP_3)
	v_dual_add_f32 v14, v14, v15 :: v_dual_add_f32 v15, v12, v13
	v_fmamk_f32 v29, v18, 0xbf737871, v7
	v_dual_fmac_f32 v7, 0x3f737871, v18 :: v_dual_sub_f32 v18, v9, v11
	s_delay_alu instid0(VALU_DEP_3) | instskip(NEXT) | instid1(VALU_DEP_3)
	v_fma_f32 v15, -0.5, v15, v2
	v_dual_add_f32 v20, v20, v22 :: v_dual_fmac_f32 v29, 0x3f167918, v16
	s_delay_alu instid0(VALU_DEP_3) | instskip(SKIP_2) | instid1(VALU_DEP_4)
	v_fmac_f32_e32 v7, 0xbf167918, v16
	v_sub_f32_e32 v16, v8, v24
	v_sub_f32_e32 v22, v12, v10
	v_fmac_f32_e32 v29, 0x3e9e377a, v14
	s_delay_alu instid0(VALU_DEP_4) | instskip(NEXT) | instid1(VALU_DEP_4)
	v_fmac_f32_e32 v7, 0x3e9e377a, v14
	v_fmamk_f32 v17, v16, 0xbf737871, v15
	v_dual_fmac_f32 v15, 0x3f737871, v16 :: v_dual_add_f32 v14, v2, v10
	v_add_f32_e32 v22, v22, v26
	s_delay_alu instid0(VALU_DEP_3) | instskip(NEXT) | instid1(VALU_DEP_3)
	v_fmac_f32_e32 v17, 0xbf167918, v18
	v_dual_fmac_f32 v15, 0x3f167918, v18 :: v_dual_add_f32 v14, v14, v12
	s_delay_alu instid0(VALU_DEP_2) | instskip(NEXT) | instid1(VALU_DEP_2)
	v_dual_sub_f32 v12, v12, v13 :: v_dual_fmac_f32 v17, 0x3e9e377a, v20
	v_dual_fmac_f32 v15, 0x3e9e377a, v20 :: v_dual_add_f32 v20, v10, v25
	s_delay_alu instid0(VALU_DEP_3) | instskip(SKIP_1) | instid1(VALU_DEP_3)
	v_add_f32_e32 v14, v14, v13
	v_sub_f32_e32 v10, v10, v25
	v_dual_sub_f32 v13, v8, v9 :: v_dual_fmac_f32 v2, -0.5, v20
	s_delay_alu instid0(VALU_DEP_3) | instskip(NEXT) | instid1(VALU_DEP_2)
	v_dual_add_f32 v14, v14, v25 :: v_dual_sub_f32 v25, v24, v11
	v_fmamk_f32 v20, v18, 0x3f737871, v2
	v_fmac_f32_e32 v2, 0xbf737871, v18
	v_add_f32_e32 v18, v9, v11
	s_delay_alu instid0(VALU_DEP_4) | instskip(NEXT) | instid1(VALU_DEP_4)
	v_dual_add_f32 v13, v13, v25 :: v_dual_add_f32 v42, v4, v14
	v_fmac_f32_e32 v20, 0xbf167918, v16
	s_delay_alu instid0(VALU_DEP_4) | instskip(NEXT) | instid1(VALU_DEP_4)
	v_fmac_f32_e32 v2, 0x3f167918, v16
	v_fma_f32 v18, -0.5, v18, v3
	v_add_f32_e32 v16, v3, v8
	v_sub_f32_e32 v30, v4, v14
	v_fmac_f32_e32 v20, 0x3e9e377a, v22
	v_fmac_f32_e32 v2, 0x3e9e377a, v22
	v_fmamk_f32 v22, v10, 0x3f737871, v18
	v_fmac_f32_e32 v18, 0xbf737871, v10
	v_add_f32_e32 v16, v16, v9
	v_sub_f32_e32 v4, v79, v85
	v_sub_f32_e32 v14, v78, v89
	v_fmac_f32_e32 v22, 0x3f167918, v12
	v_fmac_f32_e32 v18, 0xbf167918, v12
	v_add_f32_e32 v16, v16, v11
	s_delay_alu instid0(VALU_DEP_3) | instskip(NEXT) | instid1(VALU_DEP_3)
	v_fmac_f32_e32 v22, 0x3e9e377a, v13
	v_dual_fmac_f32 v18, 0x3e9e377a, v13 :: v_dual_add_f32 v13, v8, v24
	v_sub_f32_e32 v8, v9, v8
	v_sub_f32_e32 v9, v11, v24
	s_delay_alu instid0(VALU_DEP_3) | instskip(NEXT) | instid1(VALU_DEP_4)
	v_dual_add_f32 v16, v16, v24 :: v_dual_mul_f32 v11, 0xbf167918, v18
	v_fmac_f32_e32 v3, -0.5, v13
	s_delay_alu instid0(VALU_DEP_2) | instskip(NEXT) | instid1(VALU_DEP_3)
	v_dual_add_f32 v8, v8, v9 :: v_dual_add_f32 v43, v19, v16
	v_fmac_f32_e32 v11, 0xbf4f1bbd, v15
	s_delay_alu instid0(VALU_DEP_3) | instskip(SKIP_2) | instid1(VALU_DEP_3)
	v_fmamk_f32 v13, v12, 0xbf737871, v3
	v_fmac_f32_e32 v3, 0x3f737871, v12
	v_dual_mul_f32 v12, 0x3f4f1bbd, v22 :: v_dual_sub_f32 v31, v19, v16
	v_dual_add_f32 v24, v5, v11 :: v_dual_fmac_f32 v13, 0x3f167918, v10
	s_delay_alu instid0(VALU_DEP_3) | instskip(NEXT) | instid1(VALU_DEP_3)
	v_fmac_f32_e32 v3, 0xbf167918, v10
	v_fmac_f32_e32 v12, 0x3f167918, v17
	s_delay_alu instid0(VALU_DEP_3) | instskip(NEXT) | instid1(VALU_DEP_3)
	v_dual_sub_f32 v16, v88, v74 :: v_dual_fmac_f32 v13, 0x3e9e377a, v8
	v_fmac_f32_e32 v3, 0x3e9e377a, v8
	v_mul_f32_e32 v8, 0xbf167918, v22
	v_sub_f32_e32 v22, v5, v11
	v_sub_f32_e32 v5, v81, v83
	s_delay_alu instid0(VALU_DEP_4) | instskip(SKIP_3) | instid1(VALU_DEP_4)
	v_dual_mul_f32 v9, 0xbf737871, v13 :: v_dual_mul_f32 v10, 0xbf737871, v3
	v_mul_f32_e32 v3, 0xbe9e377a, v3
	v_fmac_f32_e32 v8, 0x3f4f1bbd, v17
	v_mul_f32_e32 v13, 0x3e9e377a, v13
	v_fmac_f32_e32 v9, 0x3e9e377a, v20
	v_fmac_f32_e32 v10, 0xbe9e377a, v2
	s_delay_alu instid0(VALU_DEP_4) | instskip(SKIP_1) | instid1(VALU_DEP_3)
	v_dual_fmac_f32 v3, 0x3f737871, v2 :: v_dual_add_f32 v44, v21, v8
	v_sub_f32_e32 v26, v21, v8
	v_dual_fmac_f32 v13, 0x3f737871, v20 :: v_dual_add_f32 v36, v6, v10
	s_delay_alu instid0(VALU_DEP_3)
	v_add_f32_e32 v37, v7, v3
	v_sub_f32_e32 v21, v7, v3
	v_add_f32_e32 v3, v84, v86
	v_sub_f32_e32 v20, v6, v10
	v_dual_sub_f32 v7, v82, v84 :: v_dual_sub_f32 v8, v87, v86
	v_mul_f32_e32 v2, 0xbf4f1bbd, v18
	s_delay_alu instid0(VALU_DEP_4) | instskip(SKIP_2) | instid1(VALU_DEP_4)
	v_fma_f32 v3, -0.5, v3, v0
	v_add_f32_e32 v34, v27, v9
	v_add_f32_e32 v45, v23, v12
	v_dual_add_f32 v7, v7, v8 :: v_dual_fmac_f32 v2, 0x3f167918, v15
	s_delay_alu instid0(VALU_DEP_4) | instskip(SKIP_2) | instid1(VALU_DEP_3)
	v_fmamk_f32 v6, v4, 0xbf737871, v3
	v_dual_fmac_f32 v3, 0x3f737871, v4 :: v_dual_sub_f32 v28, v27, v9
	v_sub_f32_e32 v27, v23, v12
	v_dual_add_f32 v25, v90, v2 :: v_dual_fmac_f32 v6, 0xbf167918, v5
	s_delay_alu instid0(VALU_DEP_3)
	v_fmac_f32_e32 v3, 0x3f167918, v5
	v_sub_f32_e32 v23, v90, v2
	v_add_f32_e32 v2, v0, v82
	v_sub_f32_e32 v8, v84, v82
	v_fmac_f32_e32 v6, 0x3e9e377a, v7
	v_fmac_f32_e32 v3, 0x3e9e377a, v7
	v_add_f32_e32 v7, v82, v87
	v_sub_f32_e32 v9, v86, v87
	v_sub_f32_e32 v10, v85, v83
	v_dual_add_f32 v2, v2, v84 :: v_dual_add_f32 v35, v29, v13
	s_delay_alu instid0(VALU_DEP_4) | instskip(NEXT) | instid1(VALU_DEP_4)
	v_fma_f32 v0, -0.5, v7, v0
	v_add_f32_e32 v8, v8, v9
	v_sub_f32_e32 v29, v29, v13
	v_sub_f32_e32 v11, v73, v74
	;; [unrolled: 1-line block ×3, first 2 shown]
	v_fmamk_f32 v7, v5, 0x3f737871, v0
	v_dual_fmac_f32 v0, 0xbf737871, v5 :: v_dual_sub_f32 v5, v84, v86
	v_sub_f32_e32 v13, v89, v78
	s_delay_alu instid0(VALU_DEP_3) | instskip(NEXT) | instid1(VALU_DEP_3)
	v_dual_add_f32 v2, v2, v86 :: v_dual_fmac_f32 v7, 0xbf167918, v4
	v_fmac_f32_e32 v0, 0x3f167918, v4
	v_add_f32_e32 v4, v1, v79
	s_delay_alu instid0(VALU_DEP_4) | instskip(NEXT) | instid1(VALU_DEP_4)
	v_add_f32_e32 v12, v12, v13
	v_dual_add_f32 v2, v2, v87 :: v_dual_fmac_f32 v7, 0x3e9e377a, v8
	s_delay_alu instid0(VALU_DEP_4) | instskip(NEXT) | instid1(VALU_DEP_4)
	v_fmac_f32_e32 v0, 0x3e9e377a, v8
	v_add_f32_e32 v4, v4, v81
	v_sub_f32_e32 v8, v79, v81
	s_delay_alu instid0(VALU_DEP_2) | instskip(NEXT) | instid1(VALU_DEP_2)
	v_add_f32_e32 v4, v4, v83
	v_add_f32_e32 v8, v8, v10
	v_sub_f32_e32 v10, v83, v85
	s_delay_alu instid0(VALU_DEP_3) | instskip(NEXT) | instid1(VALU_DEP_1)
	v_dual_add_f32 v9, v4, v85 :: v_dual_add_f32 v4, v81, v83
	v_fma_f32 v90, -0.5, v4, v1
	v_sub_f32_e32 v4, v82, v87
	s_delay_alu instid0(VALU_DEP_1) | instskip(SKIP_1) | instid1(VALU_DEP_2)
	v_fmamk_f32 v82, v4, 0x3f737871, v90
	v_fmac_f32_e32 v90, 0xbf737871, v4
	v_fmac_f32_e32 v82, 0x3f167918, v5
	s_delay_alu instid0(VALU_DEP_2) | instskip(NEXT) | instid1(VALU_DEP_2)
	v_fmac_f32_e32 v90, 0xbf167918, v5
	v_fmac_f32_e32 v82, 0x3e9e377a, v8
	s_delay_alu instid0(VALU_DEP_2) | instskip(SKIP_1) | instid1(VALU_DEP_1)
	v_fmac_f32_e32 v90, 0x3e9e377a, v8
	v_add_f32_e32 v8, v79, v85
	v_dual_fmac_f32 v1, -0.5, v8 :: v_dual_sub_f32 v8, v81, v79
	s_delay_alu instid0(VALU_DEP_1) | instskip(NEXT) | instid1(VALU_DEP_2)
	v_fmamk_f32 v84, v5, 0xbf737871, v1
	v_dual_fmac_f32 v1, 0x3f737871, v5 :: v_dual_add_f32 v8, v8, v10
	s_delay_alu instid0(VALU_DEP_2) | instskip(NEXT) | instid1(VALU_DEP_2)
	v_fmac_f32_e32 v84, 0x3f167918, v4
	v_dual_fmac_f32 v1, 0xbf167918, v4 :: v_dual_add_f32 v4, v80, v77
	s_delay_alu instid0(VALU_DEP_2) | instskip(NEXT) | instid1(VALU_DEP_2)
	v_fmac_f32_e32 v84, 0x3e9e377a, v8
	v_dual_fmac_f32 v1, 0x3e9e377a, v8 :: v_dual_add_f32 v4, v4, v75
	s_delay_alu instid0(VALU_DEP_1) | instskip(NEXT) | instid1(VALU_DEP_1)
	v_add_f32_e32 v4, v4, v78
	v_add_f32_e32 v8, v4, v89
	;; [unrolled: 1-line block ×3, first 2 shown]
	s_delay_alu instid0(VALU_DEP_1) | instskip(SKIP_1) | instid1(VALU_DEP_1)
	v_fma_f32 v5, -0.5, v4, v80
	v_sub_f32_e32 v4, v72, v88
	v_fmamk_f32 v10, v4, 0xbf737871, v5
	v_fmac_f32_e32 v5, 0x3f737871, v4
	s_delay_alu instid0(VALU_DEP_2) | instskip(NEXT) | instid1(VALU_DEP_2)
	v_fmac_f32_e32 v10, 0xbf167918, v11
	v_fmac_f32_e32 v5, 0x3f167918, v11
	s_delay_alu instid0(VALU_DEP_2) | instskip(NEXT) | instid1(VALU_DEP_2)
	v_fmac_f32_e32 v10, 0x3e9e377a, v12
	v_dual_fmac_f32 v5, 0x3e9e377a, v12 :: v_dual_add_f32 v12, v77, v89
	s_delay_alu instid0(VALU_DEP_1) | instskip(SKIP_1) | instid1(VALU_DEP_2)
	v_fmac_f32_e32 v80, -0.5, v12
	v_sub_f32_e32 v12, v75, v77
	v_fmamk_f32 v13, v11, 0x3f737871, v80
	v_fmac_f32_e32 v80, 0xbf737871, v11
	s_delay_alu instid0(VALU_DEP_3) | instskip(NEXT) | instid1(VALU_DEP_3)
	v_add_f32_e32 v12, v12, v14
	v_dual_sub_f32 v14, v72, v73 :: v_dual_fmac_f32 v13, 0xbf167918, v4
	s_delay_alu instid0(VALU_DEP_3) | instskip(SKIP_1) | instid1(VALU_DEP_3)
	v_fmac_f32_e32 v80, 0x3f167918, v4
	v_add_f32_e32 v4, v76, v72
	v_add_f32_e32 v14, v14, v16
	v_sub_f32_e32 v16, v74, v88
	v_fmac_f32_e32 v13, 0x3e9e377a, v12
	v_fmac_f32_e32 v80, 0x3e9e377a, v12
	v_add_f32_e32 v4, v4, v73
	v_sub_f32_e32 v12, v75, v78
	s_delay_alu instid0(VALU_DEP_2) | instskip(NEXT) | instid1(VALU_DEP_1)
	v_add_f32_e32 v4, v4, v74
	v_dual_add_f32 v11, v4, v88 :: v_dual_add_f32 v4, v73, v74
	s_delay_alu instid0(VALU_DEP_1) | instskip(NEXT) | instid1(VALU_DEP_2)
	v_add_f32_e32 v17, v9, v11
	v_fma_f32 v79, -0.5, v4, v76
	v_sub_f32_e32 v4, v77, v89
	v_sub_f32_e32 v11, v9, v11
	s_delay_alu instid0(VALU_DEP_2) | instskip(SKIP_1) | instid1(VALU_DEP_2)
	v_fmamk_f32 v15, v4, 0x3f737871, v79
	v_fmac_f32_e32 v79, 0xbf737871, v4
	v_fmac_f32_e32 v15, 0x3f167918, v12
	s_delay_alu instid0(VALU_DEP_2) | instskip(NEXT) | instid1(VALU_DEP_2)
	v_fmac_f32_e32 v79, 0xbf167918, v12
	v_fmac_f32_e32 v15, 0x3e9e377a, v14
	s_delay_alu instid0(VALU_DEP_2) | instskip(NEXT) | instid1(VALU_DEP_2)
	v_dual_fmac_f32 v79, 0x3e9e377a, v14 :: v_dual_add_f32 v14, v72, v88
	v_mul_f32_e32 v78, 0x3f4f1bbd, v15
	s_delay_alu instid0(VALU_DEP_2)
	v_dual_mul_f32 v77, 0xbf167918, v79 :: v_dual_fmac_f32 v76, -0.5, v14
	v_sub_f32_e32 v14, v73, v72
	v_mul_f32_e32 v72, 0xbf167918, v15
	v_mul_f32_e32 v79, 0xbf4f1bbd, v79
	v_fmac_f32_e32 v78, 0x3f167918, v10
	v_fmamk_f32 v75, v12, 0xbf737871, v76
	v_fmac_f32_e32 v76, 0x3f737871, v12
	v_fmac_f32_e32 v72, 0x3f4f1bbd, v10
	v_dual_add_f32 v14, v14, v16 :: v_dual_fmac_f32 v77, 0xbf4f1bbd, v5
	s_delay_alu instid0(VALU_DEP_4) | instskip(NEXT) | instid1(VALU_DEP_4)
	v_fmac_f32_e32 v75, 0x3f167918, v4
	v_fmac_f32_e32 v76, 0xbf167918, v4
	s_delay_alu instid0(VALU_DEP_4)
	v_add_f32_e32 v18, v6, v72
	v_sub_f32_e32 v6, v6, v72
	scratch_load_b32 v72, off, off offset:400 th:TH_LOAD_LU ; 4-byte Folded Reload
	s_wait_loadcnt 0x0
	ds_store_2addr_b64 v72, v[64:65], v[66:67] offset1:9
	ds_store_2addr_b64 v72, v[38:39], v[40:41] offset0:18 offset1:27
	ds_store_2addr_b64 v72, v[32:33], v[54:55] offset0:36 offset1:45
	;; [unrolled: 1-line block ×4, first 2 shown]
	scratch_load_b32 v32, off, off offset:372 th:TH_LOAD_LU ; 4-byte Folded Reload
	s_wait_loadcnt 0x0
	ds_store_2addr_b64 v32, v[42:43], v[44:45] offset1:9
	ds_store_2addr_b64 v32, v[34:35], v[36:37] offset0:18 offset1:27
	ds_store_2addr_b64 v32, v[24:25], v[30:31] offset0:36 offset1:45
	;; [unrolled: 1-line block ×4, first 2 shown]
	scratch_load_b32 v20, off, off offset:496 th:TH_LOAD_LU ; 4-byte Folded Reload
	v_fmac_f32_e32 v75, 0x3e9e377a, v14
	v_fmac_f32_e32 v76, 0x3e9e377a, v14
	v_dual_fmac_f32 v79, 0x3f167918, v5 :: v_dual_add_f32 v16, v2, v8
	v_add_f32_e32 v19, v82, v78
	s_delay_alu instid0(VALU_DEP_3) | instskip(SKIP_3) | instid1(VALU_DEP_4)
	v_dual_mul_f32 v73, 0xbf737871, v75 :: v_dual_mul_f32 v74, 0xbf737871, v76
	v_mul_f32_e32 v75, 0x3e9e377a, v75
	v_mul_f32_e32 v76, 0xbe9e377a, v76
	v_add_f32_e32 v4, v3, v77
	v_fmac_f32_e32 v73, 0x3e9e377a, v13
	v_fmac_f32_e32 v74, 0xbe9e377a, v80
	s_delay_alu instid0(VALU_DEP_4) | instskip(NEXT) | instid1(VALU_DEP_3)
	v_dual_fmac_f32 v75, 0x3f737871, v13 :: v_dual_fmac_f32 v76, 0x3f737871, v80
	v_dual_add_f32 v5, v90, v79 :: v_dual_add_f32 v12, v7, v73
	s_delay_alu instid0(VALU_DEP_3) | instskip(NEXT) | instid1(VALU_DEP_3)
	v_add_f32_e32 v14, v0, v74
	v_add_f32_e32 v13, v84, v75
	s_delay_alu instid0(VALU_DEP_4)
	v_add_f32_e32 v15, v1, v76
	v_sub_f32_e32 v10, v2, v8
	v_dual_sub_f32 v8, v7, v73 :: v_dual_sub_f32 v7, v82, v78
	v_sub_f32_e32 v9, v84, v75
	v_sub_f32_e32 v0, v0, v74
	v_dual_sub_f32 v2, v3, v77 :: v_dual_sub_f32 v1, v1, v76
	v_sub_f32_e32 v3, v90, v79
	s_wait_loadcnt 0x0
	ds_store_2addr_b64 v20, v[16:17], v[18:19] offset1:9
	ds_store_2addr_b64 v20, v[12:13], v[14:15] offset0:18 offset1:27
	ds_store_2addr_b64 v20, v[4:5], v[10:11] offset0:36 offset1:45
	;; [unrolled: 1-line block ×4, first 2 shown]
	global_wb scope:SCOPE_SE
	s_wait_dscnt 0x0
	s_barrier_signal -1
	s_barrier_wait -1
	global_inv scope:SCOPE_SE
	ds_load_2addr_b64 v[8:11], v68 offset1:108
	ds_load_2addr_b64 v[0:3], v226 offset0:48 offset1:156
	ds_load_2addr_b64 v[16:19], v70 offset0:56 offset1:164
	;; [unrolled: 1-line block ×14, first 2 shown]
	scratch_load_b64 v[12:13], off, off offset:348 th:TH_LOAD_LU ; 8-byte Folded Reload
	s_wait_dscnt 0xc
	v_dual_mul_f32 v14, v61, v3 :: v_dual_mul_f32 v29, v63, v17
	s_wait_dscnt 0xb
	v_mul_f32_e32 v20, v57, v41
	s_wait_dscnt 0xa
	v_mul_f32_e32 v32, v59, v24
	v_fmac_f32_e32 v14, v60, v2
	v_dual_mul_f32 v2, v61, v2 :: v_dual_fmac_f32 v29, v62, v16
	v_fmac_f32_e32 v20, v56, v40
	s_delay_alu instid0(VALU_DEP_4)
	v_fmac_f32_e32 v32, v58, v23
	s_wait_dscnt 0x4
	v_mul_f32_e32 v28, v103, v74
	v_fma_f32 v15, v60, v3, -v2
	v_mul_f32_e32 v2, v63, v16
	v_mul_f32_e32 v16, v115, v19
	s_wait_dscnt 0x3
	v_dual_mul_f32 v69, v107, v80 :: v_dual_fmac_f32 v28, v102, v73
	v_mul_f32_e32 v33, v99, v77
	v_fma_f32 v34, v62, v17, -v2
	v_mul_f32_e32 v2, v57, v40
	v_fmac_f32_e32 v16, v114, v18
	s_wait_dscnt 0x2
	v_mul_f32_e32 v60, v117, v82
	v_mul_f32_e32 v31, v99, v78
	v_fma_f32 v33, v98, v78, -v33
	v_fma_f32 v22, v56, v41, -v2
	v_mul_f32_e32 v2, v59, v23
	v_dual_fmac_f32 v60, v116, v81 :: v_dual_mul_f32 v3, v113, v46
	v_fmac_f32_e32 v31, v98, v77
	v_mul_f32_e32 v27, v97, v52
	s_delay_alu instid0(VALU_DEP_4)
	v_fma_f32 v36, v58, v24, -v2
	v_fmac_f32_e32 v69, v106, v79
	v_fma_f32 v3, v112, v47, -v3
	v_mul_f32_e32 v77, v123, v43
	v_fma_f32 v27, v96, v53, -v27
	s_wait_dscnt 0x1
	v_mul_f32_e32 v62, v105, v86
	s_delay_alu instid0(VALU_DEP_1) | instskip(SKIP_4) | instid1(VALU_DEP_3)
	v_dual_fmac_f32 v77, v122, v42 :: v_dual_fmac_f32 v62, v104, v85
	s_wait_loadcnt 0x0
	v_mul_f32_e32 v21, v13, v45
	v_mul_f32_e32 v2, v13, v44
	v_mul_f32_e32 v13, v109, v50
	v_fmac_f32_e32 v21, v12, v44
	s_delay_alu instid0(VALU_DEP_3)
	v_fma_f32 v24, v12, v45, -v2
	v_mul_f32_e32 v12, v115, v18
	v_mul_f32_e32 v18, v111, v26
	scratch_load_b64 v[44:45], off, off offset:500 th:TH_LOAD_LU ; 8-byte Folded Reload
	v_mul_f32_e32 v2, v113, v47
	v_fma_f32 v13, v108, v51, -v13
	v_fma_f32 v17, v114, v19, -v12
	v_mul_f32_e32 v19, v111, v25
	v_fmac_f32_e32 v18, v110, v25
	v_mov_b32_e32 v228, v70
	v_mul_f32_e32 v12, v109, v51
	v_fmac_f32_e32 v2, v112, v46
	v_fma_f32 v19, v110, v26, -v19
	scratch_load_b64 v[25:26], off, off offset:356 th:TH_LOAD_LU ; 8-byte Folded Reload
	v_fmac_f32_e32 v12, v108, v50
	s_wait_loadcnt 0x1
	v_mul_f32_e32 v72, v45, v67
	v_mul_f32_e32 v40, v45, v66
	s_wait_loadcnt 0x0
	s_delay_alu instid0(VALU_DEP_2) | instskip(SKIP_1) | instid1(VALU_DEP_2)
	v_dual_fmac_f32 v72, v44, v66 :: v_dual_mul_f32 v35, v26, v65
	v_dual_mul_f32 v23, v26, v64 :: v_dual_mul_f32 v26, v103, v73
	v_fmac_f32_e32 v35, v25, v64
	s_delay_alu instid0(VALU_DEP_2) | instskip(NEXT) | instid1(VALU_DEP_3)
	v_fma_f32 v37, v25, v65, -v23
	v_fma_f32 v30, v102, v74, -v26
	;; [unrolled: 1-line block ×3, first 2 shown]
	scratch_load_b64 v[44:45], off, off offset:456 th:TH_LOAD_LU ; 8-byte Folded Reload
	v_dual_mul_f32 v40, v117, v81 :: v_dual_mul_f32 v65, v119, v76
	v_mul_f32_e32 v26, v97, v53
	v_mul_f32_e32 v23, v101, v49
	;; [unrolled: 1-line block ×3, first 2 shown]
	s_delay_alu instid0(VALU_DEP_4) | instskip(SKIP_4) | instid1(VALU_DEP_4)
	v_fma_f32 v61, v116, v82, -v40
	v_mul_f32_e32 v40, v119, v75
	v_fmac_f32_e32 v65, v118, v75
	v_dual_mul_f32 v75, v127, v39 :: v_dual_fmac_f32 v26, v96, v52
	v_fmac_f32_e32 v23, v100, v48
	v_fma_f32 v67, v118, v76, -v40
	s_delay_alu instid0(VALU_DEP_3) | instskip(SKIP_3) | instid1(VALU_DEP_4)
	v_dual_mul_f32 v40, v105, v85 :: v_dual_fmac_f32 v75, v126, v38
	v_mul_f32_e32 v38, v127, v38
	v_fma_f32 v25, v100, v49, -v25
	v_mul_f32_e32 v64, v125, v84
	v_fma_f32 v63, v104, v86, -v40
	;; [unrolled: 2-line block ×3, first 2 shown]
	v_mul_f32_e32 v38, v121, v87
	v_fmac_f32_e32 v64, v124, v83
	s_delay_alu instid0(VALU_DEP_4) | instskip(NEXT) | instid1(VALU_DEP_3)
	v_fma_f32 v70, v106, v80, -v40
	v_fma_f32 v73, v120, v88, -v38
	v_mul_f32_e32 v38, v123, v42
	s_delay_alu instid0(VALU_DEP_1) | instskip(SKIP_3) | instid1(VALU_DEP_2)
	v_fma_f32 v78, v122, v43, -v38
	s_wait_loadcnt_dscnt 0x0
	v_mul_f32_e32 v40, v45, v89
	v_mul_f32_e32 v79, v45, v90
	v_fma_f32 v80, v44, v90, -v40
	s_delay_alu instid0(VALU_DEP_2) | instskip(NEXT) | instid1(VALU_DEP_1)
	v_dual_mul_f32 v40, v125, v83 :: v_dual_fmac_f32 v79, v44, v89
	v_fma_f32 v66, v124, v84, -v40
	scratch_load_b64 v[39:40], off, off offset:416 th:TH_LOAD_LU ; 8-byte Folded Reload
	global_wb scope:SCOPE_SE
	s_wait_loadcnt 0x0
	s_barrier_signal -1
	s_barrier_wait -1
	global_inv scope:SCOPE_SE
	v_mul_f32_e32 v81, v40, v92
	v_mul_f32_e32 v38, v40, v91
	s_delay_alu instid0(VALU_DEP_2) | instskip(NEXT) | instid1(VALU_DEP_2)
	v_fmac_f32_e32 v81, v39, v91
	v_fma_f32 v82, v39, v92, -v38
	v_dual_add_f32 v39, v29, v32 :: v_dual_add_f32 v38, v8, v29
	v_sub_f32_e32 v29, v29, v32
	s_delay_alu instid0(VALU_DEP_2) | instskip(SKIP_1) | instid1(VALU_DEP_4)
	v_fma_f32 v8, -0.5, v39, v8
	v_sub_f32_e32 v39, v34, v36
	v_add_f32_e32 v38, v38, v32
	s_delay_alu instid0(VALU_DEP_2) | instskip(SKIP_2) | instid1(VALU_DEP_2)
	v_fmamk_f32 v40, v39, 0xbf5db3d7, v8
	v_dual_fmac_f32 v8, 0x3f5db3d7, v39 :: v_dual_add_f32 v39, v9, v34
	v_add_f32_e32 v34, v34, v36
	v_add_f32_e32 v39, v39, v36
	s_delay_alu instid0(VALU_DEP_2) | instskip(SKIP_1) | instid1(VALU_DEP_2)
	v_fma_f32 v9, -0.5, v34, v9
	v_add_f32_e32 v34, v20, v21
	v_fmamk_f32 v32, v29, 0x3f5db3d7, v9
	v_fmac_f32_e32 v9, 0xbf5db3d7, v29
	s_delay_alu instid0(VALU_DEP_3) | instskip(SKIP_2) | instid1(VALU_DEP_2)
	v_dual_add_f32 v29, v14, v20 :: v_dual_fmac_f32 v14, -0.5, v34
	v_sub_f32_e32 v34, v22, v24
	v_sub_f32_e32 v20, v20, v21
	v_dual_add_f32 v29, v29, v21 :: v_dual_fmamk_f32 v36, v34, 0xbf5db3d7, v14
	v_fmac_f32_e32 v14, 0x3f5db3d7, v34
	v_add_f32_e32 v34, v15, v22
	v_add_f32_e32 v22, v22, v24
	s_delay_alu instid0(VALU_DEP_4) | instskip(SKIP_1) | instid1(VALU_DEP_3)
	v_add_f32_e32 v50, v38, v29
	v_sub_f32_e32 v58, v38, v29
	v_dual_add_f32 v34, v34, v24 :: v_dual_fmac_f32 v15, -0.5, v22
	s_delay_alu instid0(VALU_DEP_1) | instskip(NEXT) | instid1(VALU_DEP_2)
	v_add_f32_e32 v51, v39, v34
	v_fmamk_f32 v21, v20, 0x3f5db3d7, v15
	v_fmac_f32_e32 v15, 0xbf5db3d7, v20
	s_delay_alu instid0(VALU_DEP_2) | instskip(NEXT) | instid1(VALU_DEP_2)
	v_dual_sub_f32 v59, v39, v34 :: v_dual_mul_f32 v20, 0xbf5db3d7, v21
	v_mul_f32_e32 v22, 0xbf5db3d7, v15
	v_mul_f32_e32 v15, -0.5, v15
	s_delay_alu instid0(VALU_DEP_3) | instskip(NEXT) | instid1(VALU_DEP_3)
	v_dual_mul_f32 v21, 0.5, v21 :: v_dual_fmac_f32 v20, 0.5, v36
	v_fmac_f32_e32 v22, -0.5, v14
	s_delay_alu instid0(VALU_DEP_3) | instskip(NEXT) | instid1(VALU_DEP_3)
	v_fmac_f32_e32 v15, 0x3f5db3d7, v14
	v_dual_fmac_f32 v21, 0x3f5db3d7, v36 :: v_dual_mov_b32 v234, v71
	s_delay_alu instid0(VALU_DEP_4) | instskip(NEXT) | instid1(VALU_DEP_3)
	v_add_f32_e32 v52, v40, v20
	v_dual_add_f32 v46, v8, v22 :: v_dual_add_f32 v47, v9, v15
	s_delay_alu instid0(VALU_DEP_3)
	v_add_f32_e32 v53, v32, v21
	v_sub_f32_e32 v57, v9, v15
	v_add_f32_e32 v9, v16, v18
	v_sub_f32_e32 v56, v8, v22
	v_dual_add_f32 v8, v10, v16 :: v_dual_add_f32 v15, v17, v19
	v_sub_f32_e32 v54, v40, v20
	s_delay_alu instid0(VALU_DEP_4) | instskip(SKIP_1) | instid1(VALU_DEP_4)
	v_fma_f32 v9, -0.5, v9, v10
	v_sub_f32_e32 v10, v17, v19
	v_add_f32_e32 v8, v8, v18
	v_sub_f32_e32 v55, v32, v21
	s_delay_alu instid0(VALU_DEP_3)
	v_dual_mul_f32 v71, v121, v88 :: v_dual_fmamk_f32 v14, v10, 0xbf5db3d7, v9
	v_dual_fmac_f32 v9, 0x3f5db3d7, v10 :: v_dual_add_f32 v10, v11, v17
	v_fmac_f32_e32 v11, -0.5, v15
	v_sub_f32_e32 v15, v16, v18
	v_add_f32_e32 v17, v12, v35
	v_fmac_f32_e32 v71, v120, v87
	v_add_f32_e32 v10, v10, v19
	s_delay_alu instid0(VALU_DEP_4) | instskip(SKIP_3) | instid1(VALU_DEP_1)
	v_fmamk_f32 v16, v15, 0x3f5db3d7, v11
	v_fmac_f32_e32 v11, 0xbf5db3d7, v15
	v_dual_add_f32 v15, v2, v12 :: v_dual_fmac_f32 v2, -0.5, v17
	v_dual_sub_f32 v17, v13, v37 :: v_dual_sub_f32 v12, v12, v35
	v_dual_add_f32 v15, v15, v35 :: v_dual_fmamk_f32 v18, v17, 0xbf5db3d7, v2
	v_fmac_f32_e32 v2, 0x3f5db3d7, v17
	v_add_f32_e32 v17, v3, v13
	s_delay_alu instid0(VALU_DEP_3) | instskip(NEXT) | instid1(VALU_DEP_2)
	v_dual_add_f32 v13, v13, v37 :: v_dual_add_f32 v44, v8, v15
	v_dual_sub_f32 v42, v8, v15 :: v_dual_add_f32 v17, v17, v37
	s_delay_alu instid0(VALU_DEP_2) | instskip(NEXT) | instid1(VALU_DEP_2)
	v_fmac_f32_e32 v3, -0.5, v13
	v_add_f32_e32 v45, v10, v17
	s_delay_alu instid0(VALU_DEP_2) | instskip(SKIP_2) | instid1(VALU_DEP_2)
	v_fmamk_f32 v13, v12, 0x3f5db3d7, v3
	v_fmac_f32_e32 v3, 0xbf5db3d7, v12
	v_sub_f32_e32 v43, v10, v17
	v_dual_mul_f32 v12, 0xbf5db3d7, v13 :: v_dual_mul_f32 v19, 0xbf5db3d7, v3
	v_mul_f32_e32 v3, -0.5, v3
	s_delay_alu instid0(VALU_DEP_2) | instskip(NEXT) | instid1(VALU_DEP_3)
	v_dual_mul_f32 v13, 0.5, v13 :: v_dual_fmac_f32 v12, 0.5, v18
	v_fmac_f32_e32 v19, -0.5, v2
	s_delay_alu instid0(VALU_DEP_3) | instskip(NEXT) | instid1(VALU_DEP_3)
	v_dual_fmac_f32 v3, 0x3f5db3d7, v2 :: v_dual_add_f32 v2, v4, v28
	v_dual_fmac_f32 v13, 0x3f5db3d7, v18 :: v_dual_add_f32 v48, v14, v12
	s_delay_alu instid0(VALU_DEP_3) | instskip(NEXT) | instid1(VALU_DEP_3)
	v_add_f32_e32 v40, v9, v19
	v_add_f32_e32 v41, v11, v3
	v_sub_f32_e32 v39, v11, v3
	v_add_f32_e32 v3, v28, v31
	v_dual_sub_f32 v38, v9, v19 :: v_dual_add_f32 v9, v30, v33
	v_add_f32_e32 v11, v26, v72
	v_add_f32_e32 v49, v16, v13
	s_delay_alu instid0(VALU_DEP_4) | instskip(SKIP_4) | instid1(VALU_DEP_4)
	v_fma_f32 v3, -0.5, v3, v4
	v_sub_f32_e32 v4, v30, v33
	v_sub_f32_e32 v37, v16, v13
	v_dual_add_f32 v13, v27, v74 :: v_dual_sub_f32 v36, v14, v12
	v_add_f32_e32 v2, v2, v31
	v_fmamk_f32 v8, v4, 0xbf5db3d7, v3
	v_dual_fmac_f32 v3, 0x3f5db3d7, v4 :: v_dual_add_f32 v4, v5, v30
	v_fma_f32 v5, -0.5, v9, v5
	v_sub_f32_e32 v9, v28, v31
	s_delay_alu instid0(VALU_DEP_3) | instskip(NEXT) | instid1(VALU_DEP_2)
	v_add_f32_e32 v4, v4, v33
	v_fmamk_f32 v10, v9, 0x3f5db3d7, v5
	v_fmac_f32_e32 v5, 0xbf5db3d7, v9
	v_add_f32_e32 v9, v23, v26
	v_fmac_f32_e32 v23, -0.5, v11
	v_sub_f32_e32 v11, v27, v74
	s_delay_alu instid0(VALU_DEP_1)
	v_dual_add_f32 v9, v9, v72 :: v_dual_fmamk_f32 v12, v11, 0xbf5db3d7, v23
	v_fmac_f32_e32 v23, 0x3f5db3d7, v11
	v_add_f32_e32 v11, v25, v27
	v_fmac_f32_e32 v25, -0.5, v13
	v_sub_f32_e32 v13, v26, v72
	v_add_f32_e32 v32, v2, v9
	s_delay_alu instid0(VALU_DEP_4) | instskip(SKIP_1) | instid1(VALU_DEP_4)
	v_dual_sub_f32 v30, v2, v9 :: v_dual_add_f32 v11, v11, v74
	v_add_f32_e32 v2, v6, v65
	v_fmamk_f32 v14, v13, 0x3f5db3d7, v25
	v_fmac_f32_e32 v25, 0xbf5db3d7, v13
	v_add_f32_e32 v9, v62, v79
	v_add_f32_e32 v33, v4, v11
	v_sub_f32_e32 v31, v4, v11
	v_mul_f32_e32 v13, 0xbf5db3d7, v14
	v_dual_mul_f32 v15, 0xbf5db3d7, v25 :: v_dual_mul_f32 v14, 0.5, v14
	v_sub_f32_e32 v4, v67, v70
	v_add_f32_e32 v11, v63, v80
	s_delay_alu instid0(VALU_DEP_4) | instskip(NEXT) | instid1(VALU_DEP_4)
	v_fmac_f32_e32 v13, 0.5, v12
	v_dual_fmac_f32 v15, -0.5, v23 :: v_dual_fmac_f32 v14, 0x3f5db3d7, v12
	v_mul_f32_e32 v12, -0.5, v25
	v_add_f32_e32 v2, v2, v69
	s_delay_alu instid0(VALU_DEP_4) | instskip(NEXT) | instid1(VALU_DEP_4)
	v_add_f32_e32 v34, v8, v13
	v_add_f32_e32 v28, v3, v15
	v_dual_sub_f32 v26, v3, v15 :: v_dual_add_f32 v3, v65, v69
	v_fmac_f32_e32 v12, 0x3f5db3d7, v23
	v_dual_sub_f32 v24, v8, v13 :: v_dual_add_f32 v35, v10, v14
	v_sub_f32_e32 v25, v10, v14
	s_delay_alu instid0(VALU_DEP_4) | instskip(NEXT) | instid1(VALU_DEP_4)
	v_fma_f32 v3, -0.5, v3, v6
	v_dual_add_f32 v6, v67, v70 :: v_dual_add_f32 v29, v5, v12
	v_sub_f32_e32 v27, v5, v12
	s_delay_alu instid0(VALU_DEP_3) | instskip(SKIP_1) | instid1(VALU_DEP_4)
	v_fmamk_f32 v5, v4, 0xbf5db3d7, v3
	v_dual_fmac_f32 v3, 0x3f5db3d7, v4 :: v_dual_add_f32 v4, v7, v67
	v_dual_fmac_f32 v7, -0.5, v6 :: v_dual_sub_f32 v6, v65, v69
	s_delay_alu instid0(VALU_DEP_2) | instskip(NEXT) | instid1(VALU_DEP_2)
	v_add_f32_e32 v4, v4, v70
	v_fmamk_f32 v8, v6, 0x3f5db3d7, v7
	v_fmac_f32_e32 v7, 0xbf5db3d7, v6
	v_add_f32_e32 v6, v60, v62
	v_dual_fmac_f32 v60, -0.5, v9 :: v_dual_sub_f32 v9, v63, v80
	s_delay_alu instid0(VALU_DEP_2) | instskip(NEXT) | instid1(VALU_DEP_2)
	v_add_f32_e32 v6, v6, v79
	v_fmamk_f32 v10, v9, 0xbf5db3d7, v60
	v_dual_fmac_f32 v60, 0x3f5db3d7, v9 :: v_dual_add_f32 v9, v61, v63
	v_fmac_f32_e32 v61, -0.5, v11
	v_sub_f32_e32 v11, v62, v79
	v_add_f32_e32 v20, v2, v6
	s_delay_alu instid0(VALU_DEP_4) | instskip(SKIP_1) | instid1(VALU_DEP_4)
	v_dual_sub_f32 v18, v2, v6 :: v_dual_add_f32 v9, v9, v80
	v_add_f32_e32 v2, v0, v75
	v_fmamk_f32 v12, v11, 0x3f5db3d7, v61
	v_fmac_f32_e32 v61, 0xbf5db3d7, v11
	s_delay_alu instid0(VALU_DEP_4) | instskip(SKIP_1) | instid1(VALU_DEP_4)
	v_add_f32_e32 v21, v4, v9
	v_sub_f32_e32 v19, v4, v9
	v_mul_f32_e32 v11, 0xbf5db3d7, v12
	s_delay_alu instid0(VALU_DEP_4) | instskip(SKIP_1) | instid1(VALU_DEP_3)
	v_mul_f32_e32 v13, 0xbf5db3d7, v61
	v_dual_mul_f32 v15, 0.5, v12 :: v_dual_add_f32 v4, v76, v78
	v_dual_add_f32 v2, v2, v77 :: v_dual_fmac_f32 v11, 0.5, v10
	s_delay_alu instid0(VALU_DEP_3) | instskip(NEXT) | instid1(VALU_DEP_3)
	v_fmac_f32_e32 v13, -0.5, v60
	v_dual_fmac_f32 v15, 0x3f5db3d7, v10 :: v_dual_mul_f32 v10, -0.5, v61
	s_delay_alu instid0(VALU_DEP_3) | instskip(NEXT) | instid1(VALU_DEP_3)
	v_add_f32_e32 v22, v5, v11
	v_add_f32_e32 v16, v3, v13
	v_sub_f32_e32 v14, v3, v13
	s_delay_alu instid0(VALU_DEP_4) | instskip(SKIP_3) | instid1(VALU_DEP_4)
	v_dual_add_f32 v3, v75, v77 :: v_dual_fmac_f32 v10, 0x3f5db3d7, v60
	v_add_f32_e32 v23, v8, v15
	v_sub_f32_e32 v13, v8, v15
	v_sub_f32_e32 v12, v5, v11
	v_fma_f32 v0, -0.5, v3, v0
	v_sub_f32_e32 v3, v76, v78
	v_add_f32_e32 v17, v7, v10
	v_sub_f32_e32 v15, v7, v10
	s_delay_alu instid0(VALU_DEP_3) | instskip(SKIP_2) | instid1(VALU_DEP_1)
	v_fmamk_f32 v7, v3, 0xbf5db3d7, v0
	v_dual_fmac_f32 v0, 0x3f5db3d7, v3 :: v_dual_add_f32 v3, v1, v76
	v_dual_fmac_f32 v1, -0.5, v4 :: v_dual_sub_f32 v4, v75, v77
	v_dual_add_f32 v3, v3, v78 :: v_dual_fmamk_f32 v60, v4, 0x3f5db3d7, v1
	v_dual_fmac_f32 v1, 0xbf5db3d7, v4 :: v_dual_add_f32 v4, v64, v71
	s_delay_alu instid0(VALU_DEP_1) | instskip(SKIP_1) | instid1(VALU_DEP_2)
	v_add_f32_e32 v6, v4, v81
	v_add_f32_e32 v4, v71, v81
	;; [unrolled: 1-line block ×3, first 2 shown]
	s_delay_alu instid0(VALU_DEP_2) | instskip(SKIP_1) | instid1(VALU_DEP_1)
	v_fmac_f32_e32 v64, -0.5, v4
	v_sub_f32_e32 v4, v73, v82
	v_dual_sub_f32 v6, v2, v6 :: v_dual_fmamk_f32 v5, v4, 0xbf5db3d7, v64
	v_fmac_f32_e32 v64, 0x3f5db3d7, v4
	v_add_f32_e32 v4, v66, v73
	s_delay_alu instid0(VALU_DEP_1) | instskip(NEXT) | instid1(VALU_DEP_1)
	v_add_f32_e32 v61, v4, v82
	v_dual_add_f32 v4, v73, v82 :: v_dual_add_f32 v9, v3, v61
	s_delay_alu instid0(VALU_DEP_1) | instskip(SKIP_1) | instid1(VALU_DEP_1)
	v_fmac_f32_e32 v66, -0.5, v4
	v_sub_f32_e32 v4, v71, v81
	v_fmamk_f32 v11, v4, 0x3f5db3d7, v66
	v_fmac_f32_e32 v66, 0xbf5db3d7, v4
	s_delay_alu instid0(VALU_DEP_2) | instskip(SKIP_1) | instid1(VALU_DEP_3)
	v_mul_f32_e32 v62, 0xbf5db3d7, v11
	v_mul_f32_e32 v65, 0.5, v11
	v_mul_f32_e32 v63, 0xbf5db3d7, v66
	v_mul_f32_e32 v66, -0.5, v66
	s_delay_alu instid0(VALU_DEP_4) | instskip(NEXT) | instid1(VALU_DEP_4)
	v_fmac_f32_e32 v62, 0.5, v5
	v_fmac_f32_e32 v65, 0x3f5db3d7, v5
	s_delay_alu instid0(VALU_DEP_4) | instskip(NEXT) | instid1(VALU_DEP_4)
	v_fmac_f32_e32 v63, -0.5, v64
	v_fmac_f32_e32 v66, 0x3f5db3d7, v64
	s_delay_alu instid0(VALU_DEP_3)
	v_dual_add_f32 v10, v7, v62 :: v_dual_add_f32 v11, v60, v65
	v_sub_f32_e32 v2, v7, v62
	v_sub_f32_e32 v7, v3, v61
	;; [unrolled: 1-line block ×3, first 2 shown]
	scratch_load_b32 v60, off, off offset:376 th:TH_LOAD_LU ; 4-byte Folded Reload
	v_dual_add_f32 v4, v0, v63 :: v_dual_add_f32 v5, v1, v66
	v_dual_sub_f32 v0, v0, v63 :: v_dual_sub_f32 v1, v1, v66
	s_wait_loadcnt 0x0
	ds_store_2addr_b64 v60, v[50:51], v[52:53] offset1:90
	scratch_load_b32 v50, off, off offset:364 th:TH_LOAD_LU ; 4-byte Folded Reload
	s_wait_loadcnt 0x0
	ds_store_2addr_b64 v50, v[46:47], v[58:59] offset0:52 offset1:142
	scratch_load_b32 v46, off, off offset:368 th:TH_LOAD_LU ; 4-byte Folded Reload
	s_wait_loadcnt 0x0
	ds_store_2addr_b64 v46, v[54:55], v[56:57] offset0:104 offset1:194
	scratch_load_b32 v46, off, off offset:388 th:TH_LOAD_LU ; 4-byte Folded Reload
	s_wait_loadcnt 0x0
	ds_store_2addr_b64 v46, v[44:45], v[48:49] offset1:90
	scratch_load_b32 v44, off, off offset:380 th:TH_LOAD_LU ; 4-byte Folded Reload
	s_wait_loadcnt 0x0
	ds_store_2addr_b64 v44, v[40:41], v[42:43] offset0:52 offset1:142
	scratch_load_b32 v40, off, off offset:384 th:TH_LOAD_LU ; 4-byte Folded Reload
	s_wait_loadcnt 0x0
	ds_store_2addr_b64 v40, v[36:37], v[38:39] offset0:104 offset1:194
	scratch_load_b32 v36, off, off offset:404 th:TH_LOAD_LU ; 4-byte Folded Reload
	;; [unrolled: 9-line block ×4, first 2 shown]
	s_wait_loadcnt 0x0
	ds_store_2addr_b64 v12, v[8:9], v[10:11] offset1:90
	scratch_load_b32 v8, off, off offset:428 th:TH_LOAD_LU ; 4-byte Folded Reload
	s_wait_loadcnt 0x0
	ds_store_2addr_b64 v8, v[4:5], v[6:7] offset0:52 offset1:142
	scratch_load_b32 v4, off, off offset:432 th:TH_LOAD_LU ; 4-byte Folded Reload
	s_wait_loadcnt 0x0
	ds_store_2addr_b64 v4, v[2:3], v[0:1] offset0:104 offset1:194
	global_wb scope:SCOPE_SE
	s_wait_dscnt 0x0
	s_barrier_signal -1
	s_barrier_wait -1
	global_inv scope:SCOPE_SE
	ds_load_2addr_b64 v[8:11], v68 offset1:108
	ds_load_2addr_b64 v[0:3], v226 offset0:48 offset1:156
	ds_load_2addr_b64 v[13:16], v228 offset0:56 offset1:164
	;; [unrolled: 1-line block ×14, first 2 shown]
	scratch_load_b64 v[42:43], off, off offset:444 th:TH_LOAD_LU ; 8-byte Folded Reload
	s_wait_dscnt 0xd
	v_mul_f32_e32 v20, v141, v3
	s_wait_dscnt 0xc
	v_mul_f32_e32 v34, v143, v14
	;; [unrolled: 2-line block ×4, first 2 shown]
	v_dual_mul_f32 v17, v151, v24 :: v_dual_fmac_f32 v20, v140, v2
	v_mul_f32_e32 v2, v141, v2
	v_fmac_f32_e32 v34, v142, v13
	s_delay_alu instid0(VALU_DEP_4) | instskip(NEXT) | instid1(VALU_DEP_4)
	v_fmac_f32_e32 v36, v138, v22
	v_fma_f32 v17, v150, v25, -v17
	v_fmac_f32_e32 v28, v136, v40
	v_fma_f32 v21, v140, v3, -v2
	v_mul_f32_e32 v2, v143, v13
	scratch_load_b64 v[12:13], off, off offset:464 th:TH_LOAD_LU ; 8-byte Folded Reload
	s_wait_dscnt 0x8
	v_mul_f32_e32 v3, v161, v49
	s_wait_dscnt 0x3
	v_mul_f32_e32 v31, v131, v70
	v_mul_f32_e32 v65, v135, v72
	v_fma_f32 v35, v142, v14, -v2
	v_mul_f32_e32 v2, v137, v40
	s_delay_alu instid0(VALU_DEP_4) | instskip(NEXT) | instid1(VALU_DEP_4)
	v_dual_mul_f32 v14, v163, v16 :: v_dual_fmac_f32 v31, v130, v69
	v_fmac_f32_e32 v65, v134, v71
	v_fma_f32 v3, v160, v50, -v3
	s_delay_alu instid0(VALU_DEP_4)
	v_fma_f32 v29, v136, v41, -v2
	v_mul_f32_e32 v2, v139, v22
	v_fmac_f32_e32 v14, v162, v15
	v_mul_f32_e32 v19, v145, v51
	s_wait_dscnt 0x1
	v_mul_f32_e32 v67, v153, v81
	v_fma_f32 v37, v138, v23, -v2
	scratch_load_b64 v[22:23], off, off offset:436 th:TH_LOAD_LU ; 8-byte Folded Reload
	v_fma_f32 v19, v144, v52, -v19
	v_fmac_f32_e32 v67, v152, v80
	s_wait_loadcnt 0x2
	v_mul_f32_e32 v41, v43, v60
	s_delay_alu instid0(VALU_DEP_1) | instskip(SKIP_4) | instid1(VALU_DEP_3)
	v_fmac_f32_e32 v41, v42, v59
	s_wait_loadcnt 0x1
	v_mul_f32_e32 v2, v13, v47
	v_mul_f32_e32 v32, v13, v48
	;; [unrolled: 1-line block ×3, first 2 shown]
	v_fma_f32 v33, v12, v48, -v2
	v_mul_f32_e32 v2, v161, v50
	s_delay_alu instid0(VALU_DEP_4)
	v_fmac_f32_e32 v32, v12, v47
	v_mul_f32_e32 v12, v163, v15
	v_mul_f32_e32 v47, v135, v71
	v_fma_f32 v13, v148, v54, -v13
	v_fmac_f32_e32 v2, v160, v49
	scratch_load_b64 v[48:49], off, off offset:508 th:TH_LOAD_LU ; 8-byte Folded Reload
	v_fma_f32 v15, v162, v16, -v12
	v_mul_f32_e32 v16, v151, v25
	v_mul_f32_e32 v25, v131, v69
	v_fma_f32 v66, v134, v72, -v47
	s_wait_loadcnt 0x1
	v_mul_f32_e32 v26, v23, v58
	v_mul_f32_e32 v18, v23, v57
	v_fmac_f32_e32 v16, v150, v24
	v_fma_f32 v40, v130, v70, -v25
	v_mul_f32_e32 v70, v167, v39
	v_dual_mul_f32 v25, v43, v59 :: v_dual_fmac_f32 v26, v22, v57
	v_fma_f32 v27, v22, v58, -v18
	v_mul_f32_e32 v22, v147, v61
	s_delay_alu instid0(VALU_DEP_4)
	v_fmac_f32_e32 v70, v166, v38
	v_mul_f32_e32 v38, v167, v38
	v_fma_f32 v44, v42, v60, -v25
	v_mul_f32_e32 v42, v157, v74
	v_mul_f32_e32 v24, v147, v62
	v_fma_f32 v30, v146, v62, -v22
	v_fma_f32 v71, v166, v39, -v38
	v_mul_f32_e32 v38, v153, v80
	v_mul_f32_e32 v25, v157, v75
	v_fma_f32 v60, v156, v75, -v42
	v_mul_f32_e32 v62, v159, v64
	v_fmac_f32_e32 v24, v146, v61
	v_fma_f32 v69, v152, v81, -v38
	v_mul_f32_e32 v38, v155, v45
	v_mul_f32_e32 v42, v159, v63
	v_dual_fmac_f32 v62, v158, v63 :: v_dual_mul_f32 v61, v165, v77
	v_mul_f32_e32 v72, v155, v46
	s_delay_alu instid0(VALU_DEP_4)
	v_fma_f32 v73, v154, v46, -v38
	s_wait_dscnt 0x0
	v_dual_mul_f32 v38, v239, v84 :: v_dual_fmac_f32 v25, v156, v74
	v_mul_f32_e32 v12, v149, v54
	v_fmac_f32_e32 v72, v154, v45
	v_mul_f32_e32 v22, v129, v56
	v_mul_f32_e32 v23, v129, v55
	;; [unrolled: 1-line block ×3, first 2 shown]
	v_fmac_f32_e32 v12, v148, v53
	v_fma_f32 v64, v158, v64, -v42
	v_fmac_f32_e32 v22, v128, v55
	v_fma_f32 v23, v128, v56, -v23
	v_fmac_f32_e32 v18, v144, v51
	v_mul_f32_e32 v42, v133, v79
	v_mul_f32_e32 v43, v133, v78
	v_fmac_f32_e32 v61, v164, v76
	s_delay_alu instid0(VALU_DEP_3) | instskip(NEXT) | instid1(VALU_DEP_3)
	v_fmac_f32_e32 v42, v132, v78
	v_fma_f32 v43, v132, v79, -v43
	s_wait_loadcnt 0x0
	v_mul_f32_e32 v47, v49, v82
	v_mul_f32_e32 v74, v49, v83
	s_delay_alu instid0(VALU_DEP_2) | instskip(NEXT) | instid1(VALU_DEP_2)
	v_fma_f32 v75, v48, v83, -v47
	v_dual_mul_f32 v47, v165, v76 :: v_dual_fmac_f32 v74, v48, v82
	v_mul_f32_e32 v76, v239, v85
	s_delay_alu instid0(VALU_DEP_2) | instskip(SKIP_2) | instid1(VALU_DEP_4)
	v_fma_f32 v63, v164, v77, -v47
	v_fma_f32 v77, v238, v85, -v38
	v_add_f32_e32 v38, v8, v34
	v_fmac_f32_e32 v76, v238, v84
	s_delay_alu instid0(VALU_DEP_2) | instskip(SKIP_3) | instid1(VALU_DEP_3)
	v_add_f32_e32 v45, v38, v36
	v_add_f32_e32 v38, v34, v36
	v_sub_f32_e32 v34, v34, v36
	v_add_f32_e32 v36, v28, v32
	v_fma_f32 v8, -0.5, v38, v8
	v_sub_f32_e32 v38, v35, v37
	s_delay_alu instid0(VALU_DEP_1) | instskip(SKIP_2) | instid1(VALU_DEP_1)
	v_fmamk_f32 v46, v38, 0xbf5db3d7, v8
	v_fmac_f32_e32 v8, 0x3f5db3d7, v38
	v_dual_add_f32 v38, v9, v35 :: v_dual_add_f32 v35, v35, v37
	v_add_f32_e32 v47, v38, v37
	s_delay_alu instid0(VALU_DEP_2) | instskip(NEXT) | instid1(VALU_DEP_1)
	v_fma_f32 v9, -0.5, v35, v9
	v_fmamk_f32 v35, v34, 0x3f5db3d7, v9
	v_dual_fmac_f32 v9, 0xbf5db3d7, v34 :: v_dual_add_f32 v34, v20, v28
	v_fmac_f32_e32 v20, -0.5, v36
	v_sub_f32_e32 v36, v29, v33
	v_sub_f32_e32 v28, v28, v32
	s_delay_alu instid0(VALU_DEP_2) | instskip(SKIP_3) | instid1(VALU_DEP_2)
	v_dual_add_f32 v34, v34, v32 :: v_dual_fmamk_f32 v37, v36, 0xbf5db3d7, v20
	v_fmac_f32_e32 v20, 0x3f5db3d7, v36
	v_add_f32_e32 v36, v21, v29
	v_add_f32_e32 v29, v29, v33
	v_dual_sub_f32 v52, v45, v34 :: v_dual_add_f32 v49, v36, v33
	s_delay_alu instid0(VALU_DEP_2) | instskip(NEXT) | instid1(VALU_DEP_1)
	v_fmac_f32_e32 v21, -0.5, v29
	v_dual_add_f32 v29, v47, v49 :: v_dual_fmamk_f32 v32, v28, 0x3f5db3d7, v21
	v_fmac_f32_e32 v21, 0xbf5db3d7, v28
	v_dual_sub_f32 v53, v47, v49 :: v_dual_add_f32 v28, v45, v34
	s_delay_alu instid0(VALU_DEP_2) | instskip(SKIP_1) | instid1(VALU_DEP_2)
	v_dual_mul_f32 v33, 0xbf5db3d7, v32 :: v_dual_mul_f32 v48, 0xbf5db3d7, v21
	v_dual_mul_f32 v21, -0.5, v21 :: v_dual_mul_f32 v32, 0.5, v32
	v_dual_fmac_f32 v33, 0.5, v37 :: v_dual_fmac_f32 v48, -0.5, v20
	s_delay_alu instid0(VALU_DEP_2) | instskip(NEXT) | instid1(VALU_DEP_2)
	v_dual_fmac_f32 v21, 0x3f5db3d7, v20 :: v_dual_fmac_f32 v32, 0x3f5db3d7, v37
	v_add_f32_e32 v38, v46, v33
	s_delay_alu instid0(VALU_DEP_2)
	v_dual_add_f32 v36, v8, v48 :: v_dual_add_f32 v37, v9, v21
	v_sub_f32_e32 v49, v9, v21
	v_add_f32_e32 v9, v14, v16
	v_sub_f32_e32 v48, v8, v48
	v_add_f32_e32 v8, v10, v14
	;; [unrolled: 2-line block ×3, first 2 shown]
	v_fma_f32 v9, -0.5, v9, v10
	v_sub_f32_e32 v10, v15, v17
	v_add_f32_e32 v8, v8, v16
	v_add_f32_e32 v16, v12, v26
	v_dual_sub_f32 v50, v46, v33 :: v_dual_sub_f32 v51, v35, v32
	s_delay_alu instid0(VALU_DEP_4) | instskip(SKIP_2) | instid1(VALU_DEP_1)
	v_fmamk_f32 v20, v10, 0xbf5db3d7, v9
	v_dual_fmac_f32 v9, 0x3f5db3d7, v10 :: v_dual_add_f32 v10, v11, v15
	v_add_f32_e32 v15, v15, v17
	v_dual_add_f32 v10, v10, v17 :: v_dual_fmac_f32 v11, -0.5, v15
	s_delay_alu instid0(VALU_DEP_1) | instskip(SKIP_4) | instid1(VALU_DEP_2)
	v_fmamk_f32 v15, v14, 0x3f5db3d7, v11
	v_dual_fmac_f32 v11, 0xbf5db3d7, v14 :: v_dual_add_f32 v14, v2, v12
	v_fmac_f32_e32 v2, -0.5, v16
	v_sub_f32_e32 v16, v13, v27
	v_sub_f32_e32 v12, v12, v26
	v_dual_add_f32 v14, v14, v26 :: v_dual_fmamk_f32 v17, v16, 0xbf5db3d7, v2
	v_fmac_f32_e32 v2, 0x3f5db3d7, v16
	v_dual_add_f32 v16, v3, v13 :: v_dual_add_f32 v13, v13, v27
	s_delay_alu instid0(VALU_DEP_3) | instskip(SKIP_1) | instid1(VALU_DEP_3)
	v_add_f32_e32 v58, v8, v14
	v_sub_f32_e32 v32, v8, v14
	v_dual_add_f32 v16, v16, v27 :: v_dual_fmac_f32 v3, -0.5, v13
	s_delay_alu instid0(VALU_DEP_1) | instskip(NEXT) | instid1(VALU_DEP_2)
	v_add_f32_e32 v59, v10, v16
	v_fmamk_f32 v13, v12, 0x3f5db3d7, v3
	v_fmac_f32_e32 v3, 0xbf5db3d7, v12
	v_sub_f32_e32 v33, v10, v16
	v_add_f32_e32 v10, v22, v41
	s_delay_alu instid0(VALU_DEP_3) | instskip(SKIP_2) | instid1(VALU_DEP_3)
	v_dual_mul_f32 v12, 0xbf5db3d7, v13 :: v_dual_mul_f32 v21, 0xbf5db3d7, v3
	v_mul_f32_e32 v3, -0.5, v3
	v_mul_f32_e32 v13, 0.5, v13
	v_dual_fmac_f32 v12, 0.5, v17 :: v_dual_fmac_f32 v21, -0.5, v2
	s_delay_alu instid0(VALU_DEP_3) | instskip(NEXT) | instid1(VALU_DEP_2)
	v_dual_fmac_f32 v3, 0x3f5db3d7, v2 :: v_dual_add_f32 v2, v4, v24
	v_dual_fmac_f32 v13, 0x3f5db3d7, v17 :: v_dual_add_f32 v34, v20, v12
	s_delay_alu instid0(VALU_DEP_2) | instskip(SKIP_4) | instid1(VALU_DEP_3)
	v_dual_add_f32 v54, v9, v21 :: v_dual_add_f32 v55, v11, v3
	v_sub_f32_e32 v27, v11, v3
	v_dual_add_f32 v3, v24, v31 :: v_dual_sub_f32 v26, v9, v21
	v_add_f32_e32 v9, v30, v40
	v_dual_sub_f32 v56, v20, v12 :: v_dual_add_f32 v35, v15, v13
	v_fma_f32 v3, -0.5, v3, v4
	v_dual_sub_f32 v4, v30, v40 :: v_dual_sub_f32 v57, v15, v13
	v_add_f32_e32 v2, v2, v31
	s_delay_alu instid0(VALU_DEP_2) | instskip(SKIP_3) | instid1(VALU_DEP_1)
	v_fmamk_f32 v8, v4, 0xbf5db3d7, v3
	v_dual_fmac_f32 v3, 0x3f5db3d7, v4 :: v_dual_add_f32 v4, v5, v30
	v_fma_f32 v5, -0.5, v9, v5
	v_sub_f32_e32 v9, v24, v31
	v_dual_add_f32 v4, v4, v40 :: v_dual_fmamk_f32 v11, v9, 0x3f5db3d7, v5
	v_fmac_f32_e32 v5, 0xbf5db3d7, v9
	v_add_f32_e32 v9, v18, v22
	v_fmac_f32_e32 v18, -0.5, v10
	s_delay_alu instid0(VALU_DEP_2) | instskip(NEXT) | instid1(VALU_DEP_1)
	v_dual_sub_f32 v10, v23, v44 :: v_dual_add_f32 v9, v9, v41
	v_fmamk_f32 v12, v10, 0xbf5db3d7, v18
	v_fmac_f32_e32 v18, 0x3f5db3d7, v10
	v_add_f32_e32 v10, v19, v23
	s_delay_alu instid0(VALU_DEP_4) | instskip(NEXT) | instid1(VALU_DEP_2)
	v_add_f32_e32 v30, v2, v9
	v_add_f32_e32 v13, v10, v44
	v_add_f32_e32 v10, v23, v44
	v_sub_f32_e32 v44, v2, v9
	s_delay_alu instid0(VALU_DEP_3) | instskip(NEXT) | instid1(VALU_DEP_3)
	v_dual_add_f32 v2, v6, v62 :: v_dual_add_f32 v31, v4, v13
	v_dual_fmac_f32 v19, -0.5, v10 :: v_dual_sub_f32 v10, v22, v41
	v_sub_f32_e32 v45, v4, v13
	s_delay_alu instid0(VALU_DEP_3) | instskip(SKIP_1) | instid1(VALU_DEP_4)
	v_add_f32_e32 v4, v2, v65
	v_add_f32_e32 v2, v62, v65
	v_fmamk_f32 v15, v10, 0x3f5db3d7, v19
	s_delay_alu instid0(VALU_DEP_1) | instskip(SKIP_1) | instid1(VALU_DEP_2)
	v_dual_fmac_f32 v19, 0xbf5db3d7, v10 :: v_dual_mul_f32 v10, 0xbf5db3d7, v15
	v_mul_f32_e32 v17, 0.5, v15
	v_mul_f32_e32 v16, 0xbf5db3d7, v19
	s_delay_alu instid0(VALU_DEP_3) | instskip(NEXT) | instid1(VALU_DEP_3)
	v_fmac_f32_e32 v10, 0.5, v12
	v_dual_fmac_f32 v17, 0x3f5db3d7, v12 :: v_dual_mul_f32 v12, -0.5, v19
	s_delay_alu instid0(VALU_DEP_3) | instskip(NEXT) | instid1(VALU_DEP_3)
	v_fmac_f32_e32 v16, -0.5, v18
	v_add_f32_e32 v46, v8, v10
	v_sub_f32_e32 v10, v8, v10
	s_delay_alu instid0(VALU_DEP_4) | instskip(NEXT) | instid1(VALU_DEP_4)
	v_fmac_f32_e32 v12, 0x3f5db3d7, v18
	v_add_f32_e32 v14, v3, v16
	v_sub_f32_e32 v40, v3, v16
	v_add_f32_e32 v47, v11, v17
	v_sub_f32_e32 v11, v11, v17
	;; [unrolled: 2-line block ×3, first 2 shown]
	v_fma_f32 v5, -0.5, v2, v6
	v_sub_f32_e32 v2, v64, v66
	s_delay_alu instid0(VALU_DEP_1) | instskip(SKIP_1) | instid1(VALU_DEP_1)
	v_fmamk_f32 v6, v2, 0xbf5db3d7, v5
	v_dual_fmac_f32 v5, 0x3f5db3d7, v2 :: v_dual_add_f32 v2, v7, v64
	v_add_f32_e32 v8, v2, v66
	v_add_f32_e32 v2, v64, v66
	s_delay_alu instid0(VALU_DEP_1) | instskip(NEXT) | instid1(VALU_DEP_1)
	v_dual_fmac_f32 v7, -0.5, v2 :: v_dual_sub_f32 v2, v62, v65
	v_fmamk_f32 v9, v2, 0x3f5db3d7, v7
	v_fmac_f32_e32 v7, 0xbf5db3d7, v2
	v_add_f32_e32 v2, v25, v42
	s_delay_alu instid0(VALU_DEP_1) | instskip(SKIP_1) | instid1(VALU_DEP_1)
	v_add_f32_e32 v12, v2, v74
	v_add_f32_e32 v2, v42, v74
	v_dual_sub_f32 v22, v4, v12 :: v_dual_fmac_f32 v25, -0.5, v2
	v_sub_f32_e32 v2, v43, v75
	s_delay_alu instid0(VALU_DEP_1) | instskip(SKIP_1) | instid1(VALU_DEP_1)
	v_fmamk_f32 v3, v2, 0xbf5db3d7, v25
	v_dual_fmac_f32 v25, 0x3f5db3d7, v2 :: v_dual_add_f32 v2, v60, v43
	v_add_f32_e32 v13, v2, v75
	s_delay_alu instid0(VALU_DEP_1) | instskip(NEXT) | instid1(VALU_DEP_1)
	v_dual_add_f32 v2, v43, v75 :: v_dual_add_f32 v43, v8, v13
	v_fmac_f32_e32 v60, -0.5, v2
	v_sub_f32_e32 v2, v42, v74
	v_add_f32_e32 v42, v4, v12
	v_add_f32_e32 v4, v0, v70
	s_delay_alu instid0(VALU_DEP_3) | instskip(NEXT) | instid1(VALU_DEP_1)
	v_dual_sub_f32 v23, v8, v13 :: v_dual_fmamk_f32 v16, v2, 0x3f5db3d7, v60
	v_dual_fmac_f32 v60, 0xbf5db3d7, v2 :: v_dual_mul_f32 v17, 0xbf5db3d7, v16
	s_delay_alu instid0(VALU_DEP_1) | instskip(SKIP_1) | instid1(VALU_DEP_3)
	v_mul_f32_e32 v21, -0.5, v60
	v_mul_f32_e32 v19, 0xbf5db3d7, v60
	v_dual_mul_f32 v20, 0.5, v16 :: v_dual_fmac_f32 v17, 0.5, v3
	s_delay_alu instid0(VALU_DEP_3) | instskip(NEXT) | instid1(VALU_DEP_2)
	v_fmac_f32_e32 v21, 0x3f5db3d7, v25
	v_dual_fmac_f32 v19, -0.5, v25 :: v_dual_fmac_f32 v20, 0x3f5db3d7, v3
	s_delay_alu instid0(VALU_DEP_3)
	v_add_f32_e32 v2, v6, v17
	v_sub_f32_e32 v18, v6, v17
	v_add_f32_e32 v6, v4, v72
	v_dual_add_f32 v4, v70, v72 :: v_dual_add_f32 v25, v7, v21
	v_dual_sub_f32 v17, v7, v21 :: v_dual_add_f32 v24, v5, v19
	v_add_f32_e32 v3, v9, v20
	s_delay_alu instid0(VALU_DEP_3) | instskip(SKIP_3) | instid1(VALU_DEP_3)
	v_fma_f32 v0, -0.5, v4, v0
	v_sub_f32_e32 v4, v71, v73
	v_sub_f32_e32 v16, v5, v19
	;; [unrolled: 1-line block ×3, first 2 shown]
	v_fmamk_f32 v7, v4, 0xbf5db3d7, v0
	v_fmac_f32_e32 v0, 0x3f5db3d7, v4
	v_add_f32_e32 v4, v1, v71
	s_delay_alu instid0(VALU_DEP_1) | instskip(SKIP_1) | instid1(VALU_DEP_1)
	v_add_f32_e32 v9, v4, v73
	v_add_f32_e32 v4, v71, v73
	v_fmac_f32_e32 v1, -0.5, v4
	v_sub_f32_e32 v4, v70, v72
	s_delay_alu instid0(VALU_DEP_1) | instskip(SKIP_1) | instid1(VALU_DEP_1)
	v_fmamk_f32 v60, v4, 0x3f5db3d7, v1
	v_dual_fmac_f32 v1, 0xbf5db3d7, v4 :: v_dual_add_f32 v4, v61, v67
	v_add_f32_e32 v8, v4, v76
	v_add_f32_e32 v4, v67, v76
	s_delay_alu instid0(VALU_DEP_2) | instskip(NEXT) | instid1(VALU_DEP_2)
	v_add_f32_e32 v20, v6, v8
	v_dual_fmac_f32 v61, -0.5, v4 :: v_dual_sub_f32 v4, v69, v77
	s_delay_alu instid0(VALU_DEP_1) | instskip(SKIP_1) | instid1(VALU_DEP_1)
	v_dual_sub_f32 v8, v6, v8 :: v_dual_fmamk_f32 v5, v4, 0xbf5db3d7, v61
	v_dual_fmac_f32 v61, 0x3f5db3d7, v4 :: v_dual_add_f32 v4, v63, v69
	v_add_f32_e32 v62, v4, v77
	v_add_f32_e32 v4, v69, v77
	s_delay_alu instid0(VALU_DEP_2) | instskip(NEXT) | instid1(VALU_DEP_2)
	v_add_f32_e32 v21, v9, v62
	v_fmac_f32_e32 v63, -0.5, v4
	v_dual_sub_f32 v4, v67, v76 :: v_dual_sub_f32 v9, v9, v62
	s_delay_alu instid0(VALU_DEP_1) | instskip(NEXT) | instid1(VALU_DEP_1)
	v_fmamk_f32 v13, v4, 0x3f5db3d7, v63
	v_dual_fmac_f32 v63, 0xbf5db3d7, v4 :: v_dual_mul_f32 v64, 0xbf5db3d7, v13
	s_delay_alu instid0(VALU_DEP_1) | instskip(SKIP_1) | instid1(VALU_DEP_3)
	v_mul_f32_e32 v65, 0xbf5db3d7, v63
	v_dual_mul_f32 v63, -0.5, v63 :: v_dual_mul_f32 v66, 0.5, v13
	v_fmac_f32_e32 v64, 0.5, v5
	s_delay_alu instid0(VALU_DEP_3) | instskip(NEXT) | instid1(VALU_DEP_3)
	v_fmac_f32_e32 v65, -0.5, v61
	v_fmac_f32_e32 v63, 0x3f5db3d7, v61
	s_delay_alu instid0(VALU_DEP_4) | instskip(NEXT) | instid1(VALU_DEP_4)
	v_fmac_f32_e32 v66, 0x3f5db3d7, v5
	v_sub_f32_e32 v6, v7, v64
	s_delay_alu instid0(VALU_DEP_3) | instskip(SKIP_1) | instid1(VALU_DEP_4)
	v_dual_add_f32 v12, v7, v64 :: v_dual_add_f32 v5, v1, v63
	v_add_f32_e32 v4, v0, v65
	v_add_f32_e32 v13, v60, v66
	v_sub_f32_e32 v0, v0, v65
	v_sub_f32_e32 v7, v60, v66
	;; [unrolled: 1-line block ×3, first 2 shown]
	ds_store_b64 v68, v[38:39] offset:4320
	ds_store_b64 v68, v[36:37] offset:8640
	;; [unrolled: 1-line block ×5, first 2 shown]
	ds_store_2addr_b64 v68, v[28:29], v[58:59] offset1:108
	ds_store_b64 v68, v[54:55] offset:9504
	ds_store_b64 v68, v[56:57] offset:18144
	ds_store_2addr_b64 v234, v[34:35], v[46:47] offset0:136 offset1:244
	ds_store_2addr_b64 v233, v[32:33], v[44:45] offset0:64 offset1:172
	;; [unrolled: 1-line block ×5, first 2 shown]
	ds_store_b64 v68, v[22:23] offset:15552
	ds_store_2addr_b64 v229, v[10:11], v[18:19] offset0:72 offset1:180
	ds_store_b64 v68, v[16:17] offset:24192
	ds_store_b64 v68, v[20:21] offset:3456
	ds_store_2addr_b64 v217, v[2:3], v[12:13] offset0:96 offset1:204
	ds_store_b64 v68, v[4:5] offset:12096
	ds_store_b64 v68, v[8:9] offset:16416
	;; [unrolled: 1-line block ×4, first 2 shown]
	global_wb scope:SCOPE_SE
	s_wait_dscnt 0x0
	s_barrier_signal -1
	s_barrier_wait -1
	global_inv scope:SCOPE_SE
	scratch_load_b64 v[5:6], off, off offset:232 th:TH_LOAD_LU ; 8-byte Folded Reload
	ds_load_2addr_b64 v[0:3], v68 offset1:108
	s_clause 0x1
	scratch_load_b64 v[10:11], off, off offset:224 th:TH_LOAD_LU
	scratch_load_b64 v[12:13], off, off offset:240 th:TH_LOAD_LU
	s_wait_loadcnt_dscnt 0x200
	v_mul_f32_e32 v4, v6, v1
	v_mov_b32_e32 v7, v6
	v_mov_b32_e32 v6, v5
	s_delay_alu instid0(VALU_DEP_3) | instskip(NEXT) | instid1(VALU_DEP_3)
	v_fmac_f32_e32 v4, v5, v0
	v_mul_f32_e32 v0, v7, v0
	s_delay_alu instid0(VALU_DEP_2) | instskip(NEXT) | instid1(VALU_DEP_2)
	v_cvt_f64_f32_e32 v[4:5], v4
	v_fma_f32 v0, v6, v1, -v0
	scratch_load_b32 v6, off, off offset:248 th:TH_LOAD_LU ; 4-byte Folded Reload
	v_cvt_f64_f32_e32 v[0:1], v0
	s_wait_alu 0xfffe
	v_mul_f64_e32 v[4:5], s[6:7], v[4:5]
	s_delay_alu instid0(VALU_DEP_2) | instskip(NEXT) | instid1(VALU_DEP_2)
	v_mul_f64_e32 v[0:1], s[6:7], v[0:1]
	v_cvt_f32_f64_e32 v4, v[4:5]
	s_delay_alu instid0(VALU_DEP_2) | instskip(SKIP_2) | instid1(VALU_DEP_1)
	v_cvt_f32_f64_e32 v5, v[0:1]
	s_wait_loadcnt 0x0
	v_mad_co_u64_u32 v[0:1], null, s0, v6, 0
	v_mad_co_u64_u32 v[6:7], null, s1, v6, v[1:2]
	s_mul_u64 s[0:1], s[0:1], s[2:3]
	s_delay_alu instid0(VALU_DEP_1) | instskip(SKIP_4) | instid1(VALU_DEP_1)
	v_mov_b32_e32 v1, v6
	scratch_load_b64 v[6:7], off, off offset:200 th:TH_LOAD_LU ; 8-byte Folded Reload
	v_lshlrev_b64_e32 v[0:1], 3, v[0:1]
	s_wait_loadcnt 0x0
	v_lshlrev_b64_e32 v[6:7], 3, v[6:7]
	v_add_co_u32 v6, vcc_lo, s12, v6
	s_wait_alu 0xfffd
	s_delay_alu instid0(VALU_DEP_2) | instskip(NEXT) | instid1(VALU_DEP_2)
	v_add_co_ci_u32_e32 v7, vcc_lo, s13, v7, vcc_lo
	v_add_co_u32 v0, vcc_lo, v6, v0
	s_wait_alu 0xfffd
	s_delay_alu instid0(VALU_DEP_2)
	v_add_co_ci_u32_e32 v1, vcc_lo, v7, v1, vcc_lo
	global_store_b64 v[0:1], v[4:5], off
	ds_load_2addr_b64 v[4:7], v228 offset0:56 offset1:164
	v_add_co_u32 v0, vcc_lo, v0, s4
	s_wait_alu 0xfffd
	v_add_co_ci_u32_e32 v1, vcc_lo, s5, v1, vcc_lo
	s_wait_dscnt 0x0
	v_mul_f32_e32 v8, v11, v5
	s_delay_alu instid0(VALU_DEP_1) | instskip(SKIP_1) | instid1(VALU_DEP_2)
	v_fmac_f32_e32 v8, v10, v4
	v_mul_f32_e32 v4, v11, v4
	v_cvt_f64_f32_e32 v[8:9], v8
	s_delay_alu instid0(VALU_DEP_2) | instskip(NEXT) | instid1(VALU_DEP_1)
	v_fma_f32 v4, v10, v5, -v4
	v_cvt_f64_f32_e32 v[4:5], v4
	s_delay_alu instid0(VALU_DEP_3) | instskip(NEXT) | instid1(VALU_DEP_2)
	v_mul_f64_e32 v[8:9], s[6:7], v[8:9]
	v_mul_f64_e32 v[4:5], s[6:7], v[4:5]
	s_delay_alu instid0(VALU_DEP_2) | instskip(NEXT) | instid1(VALU_DEP_2)
	v_cvt_f32_f64_e32 v8, v[8:9]
	v_cvt_f32_f64_e32 v9, v[4:5]
	global_store_b64 v[0:1], v[8:9], off
	ds_load_2addr_b64 v[8:11], v227 offset0:112 offset1:220
	v_add_co_u32 v0, vcc_lo, v0, s4
	s_wait_alu 0xfffd
	v_add_co_ci_u32_e32 v1, vcc_lo, s5, v1, vcc_lo
	s_wait_dscnt 0x0
	v_mul_f32_e32 v4, v13, v9
	s_delay_alu instid0(VALU_DEP_1) | instskip(NEXT) | instid1(VALU_DEP_1)
	v_fmac_f32_e32 v4, v12, v8
	v_cvt_f64_f32_e32 v[4:5], v4
	s_delay_alu instid0(VALU_DEP_1) | instskip(NEXT) | instid1(VALU_DEP_1)
	v_mul_f64_e32 v[4:5], s[6:7], v[4:5]
	v_cvt_f32_f64_e32 v4, v[4:5]
	v_mul_f32_e32 v5, v13, v8
	s_delay_alu instid0(VALU_DEP_1) | instskip(SKIP_2) | instid1(VALU_DEP_1)
	v_fma_f32 v5, v12, v9, -v5
	scratch_load_b64 v[12:13], off, off offset:168 th:TH_LOAD_LU ; 8-byte Folded Reload
	v_cvt_f64_f32_e32 v[8:9], v5
	v_mul_f64_e32 v[8:9], s[6:7], v[8:9]
	s_delay_alu instid0(VALU_DEP_1)
	v_cvt_f32_f64_e32 v5, v[8:9]
	scratch_load_b64 v[8:9], off, off offset:216 th:TH_LOAD_LU ; 8-byte Folded Reload
	global_store_b64 v[0:1], v[4:5], off
	s_wait_alu 0xfffe
	v_add_co_u32 v0, vcc_lo, v0, s0
	s_wait_alu 0xfffd
	v_add_co_ci_u32_e32 v1, vcc_lo, s1, v1, vcc_lo
	s_wait_loadcnt 0x0
	v_mul_f32_e32 v4, v9, v3
	s_delay_alu instid0(VALU_DEP_1) | instskip(SKIP_1) | instid1(VALU_DEP_2)
	v_fmac_f32_e32 v4, v8, v2
	v_mul_f32_e32 v2, v9, v2
	v_cvt_f64_f32_e32 v[4:5], v4
	s_delay_alu instid0(VALU_DEP_2) | instskip(NEXT) | instid1(VALU_DEP_1)
	v_fma_f32 v2, v8, v3, -v2
	v_cvt_f64_f32_e32 v[2:3], v2
	s_delay_alu instid0(VALU_DEP_3) | instskip(NEXT) | instid1(VALU_DEP_2)
	v_mul_f64_e32 v[4:5], s[6:7], v[4:5]
	v_mul_f64_e32 v[2:3], s[6:7], v[2:3]
	s_delay_alu instid0(VALU_DEP_2) | instskip(NEXT) | instid1(VALU_DEP_2)
	v_cvt_f32_f64_e32 v4, v[4:5]
	v_cvt_f32_f64_e32 v5, v[2:3]
	global_store_b64 v[0:1], v[4:5], off
	scratch_load_b64 v[3:4], off, off offset:208 th:TH_LOAD_LU ; 8-byte Folded Reload
	v_add_co_u32 v0, vcc_lo, v0, s4
	s_wait_alu 0xfffd
	v_add_co_ci_u32_e32 v1, vcc_lo, s5, v1, vcc_lo
	s_wait_loadcnt 0x0
	v_mul_f32_e32 v2, v4, v7
	v_mov_b32_e32 v5, v4
	v_mov_b32_e32 v4, v3
	s_delay_alu instid0(VALU_DEP_3) | instskip(NEXT) | instid1(VALU_DEP_1)
	v_fmac_f32_e32 v2, v3, v6
	v_cvt_f64_f32_e32 v[2:3], v2
	s_delay_alu instid0(VALU_DEP_1) | instskip(NEXT) | instid1(VALU_DEP_1)
	v_mul_f64_e32 v[2:3], s[6:7], v[2:3]
	v_cvt_f32_f64_e32 v2, v[2:3]
	v_mul_f32_e32 v3, v5, v6
	s_delay_alu instid0(VALU_DEP_1) | instskip(SKIP_2) | instid1(VALU_DEP_1)
	v_fma_f32 v3, v4, v7, -v3
	scratch_load_b64 v[7:8], off, off offset:184 th:TH_LOAD_LU ; 8-byte Folded Reload
	v_cvt_f64_f32_e32 v[3:4], v3
	v_mul_f64_e32 v[3:4], s[6:7], v[3:4]
	s_delay_alu instid0(VALU_DEP_1)
	v_cvt_f32_f64_e32 v3, v[3:4]
	global_store_b64 v[0:1], v[2:3], off
	scratch_load_b64 v[3:4], off, off offset:192 th:TH_LOAD_LU ; 8-byte Folded Reload
	s_wait_loadcnt 0x0
	v_mul_f32_e32 v2, v4, v11
	v_mov_b32_e32 v5, v4
	v_mov_b32_e32 v4, v3
	s_delay_alu instid0(VALU_DEP_3) | instskip(NEXT) | instid1(VALU_DEP_1)
	v_fmac_f32_e32 v2, v3, v10
	v_cvt_f64_f32_e32 v[2:3], v2
	s_delay_alu instid0(VALU_DEP_1) | instskip(NEXT) | instid1(VALU_DEP_1)
	v_mul_f64_e32 v[2:3], s[6:7], v[2:3]
	v_cvt_f32_f64_e32 v2, v[2:3]
	v_mul_f32_e32 v3, v5, v10
	s_delay_alu instid0(VALU_DEP_1) | instskip(SKIP_2) | instid1(VALU_DEP_1)
	v_fma_f32 v3, v4, v11, -v3
	scratch_load_b64 v[10:11], off, off offset:176 th:TH_LOAD_LU ; 8-byte Folded Reload
	v_cvt_f64_f32_e32 v[3:4], v3
	v_mul_f64_e32 v[3:4], s[6:7], v[3:4]
	s_delay_alu instid0(VALU_DEP_1)
	v_cvt_f32_f64_e32 v3, v[3:4]
	v_add_co_u32 v4, vcc_lo, v0, s4
	s_wait_alu 0xfffd
	v_add_co_ci_u32_e32 v5, vcc_lo, s5, v1, vcc_lo
	global_store_b64 v[4:5], v[2:3], off
	ds_load_2addr_b64 v[0:3], v231 offset0:88 offset1:196
	s_wait_dscnt 0x0
	v_mul_f32_e32 v6, v8, v1
	v_mov_b32_e32 v9, v8
	v_mov_b32_e32 v8, v7
	s_delay_alu instid0(VALU_DEP_3) | instskip(NEXT) | instid1(VALU_DEP_3)
	v_fmac_f32_e32 v6, v7, v0
	v_mul_f32_e32 v0, v9, v0
	s_delay_alu instid0(VALU_DEP_2) | instskip(NEXT) | instid1(VALU_DEP_2)
	v_cvt_f64_f32_e32 v[6:7], v6
	v_fma_f32 v0, v8, v1, -v0
	s_delay_alu instid0(VALU_DEP_1) | instskip(NEXT) | instid1(VALU_DEP_3)
	v_cvt_f64_f32_e32 v[0:1], v0
	v_mul_f64_e32 v[6:7], s[6:7], v[6:7]
	s_delay_alu instid0(VALU_DEP_2) | instskip(NEXT) | instid1(VALU_DEP_2)
	v_mul_f64_e32 v[0:1], s[6:7], v[0:1]
	v_cvt_f32_f64_e32 v6, v[6:7]
	s_delay_alu instid0(VALU_DEP_2)
	v_cvt_f32_f64_e32 v7, v[0:1]
	v_add_co_u32 v0, vcc_lo, v4, s0
	s_wait_alu 0xfffd
	v_add_co_ci_u32_e32 v1, vcc_lo, s1, v5, vcc_lo
	global_store_b64 v[0:1], v[6:7], off
	ds_load_2addr_b64 v[4:7], v230 offset0:16 offset1:124
	v_add_co_u32 v0, vcc_lo, v0, s4
	s_wait_alu 0xfffd
	v_add_co_ci_u32_e32 v1, vcc_lo, s5, v1, vcc_lo
	s_wait_loadcnt_dscnt 0x0
	v_mul_f32_e32 v8, v11, v5
	s_delay_alu instid0(VALU_DEP_1) | instskip(SKIP_1) | instid1(VALU_DEP_2)
	v_fmac_f32_e32 v8, v10, v4
	v_mul_f32_e32 v4, v11, v4
	v_cvt_f64_f32_e32 v[8:9], v8
	s_delay_alu instid0(VALU_DEP_2) | instskip(NEXT) | instid1(VALU_DEP_1)
	v_fma_f32 v4, v10, v5, -v4
	v_cvt_f64_f32_e32 v[4:5], v4
	s_delay_alu instid0(VALU_DEP_3) | instskip(NEXT) | instid1(VALU_DEP_2)
	v_mul_f64_e32 v[8:9], s[6:7], v[8:9]
	v_mul_f64_e32 v[4:5], s[6:7], v[4:5]
	s_delay_alu instid0(VALU_DEP_2) | instskip(NEXT) | instid1(VALU_DEP_2)
	v_cvt_f32_f64_e32 v8, v[8:9]
	v_cvt_f32_f64_e32 v9, v[4:5]
	global_store_b64 v[0:1], v[8:9], off
	ds_load_2addr_b64 v[8:11], v229 offset0:72 offset1:180
	v_add_co_u32 v0, vcc_lo, v0, s4
	s_wait_alu 0xfffd
	v_add_co_ci_u32_e32 v1, vcc_lo, s5, v1, vcc_lo
	s_wait_dscnt 0x0
	v_mul_f32_e32 v4, v13, v9
	s_delay_alu instid0(VALU_DEP_1) | instskip(NEXT) | instid1(VALU_DEP_1)
	v_fmac_f32_e32 v4, v12, v8
	v_cvt_f64_f32_e32 v[4:5], v4
	s_delay_alu instid0(VALU_DEP_1) | instskip(NEXT) | instid1(VALU_DEP_1)
	v_mul_f64_e32 v[4:5], s[6:7], v[4:5]
	v_cvt_f32_f64_e32 v4, v[4:5]
	v_mul_f32_e32 v5, v13, v8
	s_delay_alu instid0(VALU_DEP_1) | instskip(SKIP_2) | instid1(VALU_DEP_1)
	v_fma_f32 v5, v12, v9, -v5
	scratch_load_b64 v[12:13], off, off offset:120 th:TH_LOAD_LU ; 8-byte Folded Reload
	v_cvt_f64_f32_e32 v[8:9], v5
	v_mul_f64_e32 v[8:9], s[6:7], v[8:9]
	s_delay_alu instid0(VALU_DEP_1)
	v_cvt_f32_f64_e32 v5, v[8:9]
	scratch_load_b64 v[8:9], off, off offset:160 th:TH_LOAD_LU ; 8-byte Folded Reload
	global_store_b64 v[0:1], v[4:5], off
	v_add_co_u32 v0, vcc_lo, v0, s0
	s_wait_alu 0xfffd
	v_add_co_ci_u32_e32 v1, vcc_lo, s1, v1, vcc_lo
	s_wait_loadcnt 0x0
	v_mul_f32_e32 v4, v9, v3
	s_delay_alu instid0(VALU_DEP_1) | instskip(SKIP_1) | instid1(VALU_DEP_2)
	v_fmac_f32_e32 v4, v8, v2
	v_mul_f32_e32 v2, v9, v2
	v_cvt_f64_f32_e32 v[4:5], v4
	s_delay_alu instid0(VALU_DEP_2) | instskip(NEXT) | instid1(VALU_DEP_1)
	v_fma_f32 v2, v8, v3, -v2
	v_cvt_f64_f32_e32 v[2:3], v2
	s_delay_alu instid0(VALU_DEP_3) | instskip(NEXT) | instid1(VALU_DEP_2)
	v_mul_f64_e32 v[4:5], s[6:7], v[4:5]
	v_mul_f64_e32 v[2:3], s[6:7], v[2:3]
	s_delay_alu instid0(VALU_DEP_2) | instskip(NEXT) | instid1(VALU_DEP_2)
	v_cvt_f32_f64_e32 v4, v[4:5]
	v_cvt_f32_f64_e32 v5, v[2:3]
	global_store_b64 v[0:1], v[4:5], off
	scratch_load_b64 v[3:4], off, off offset:152 th:TH_LOAD_LU ; 8-byte Folded Reload
	v_add_co_u32 v0, vcc_lo, v0, s4
	s_wait_alu 0xfffd
	v_add_co_ci_u32_e32 v1, vcc_lo, s5, v1, vcc_lo
	s_wait_loadcnt 0x0
	v_mul_f32_e32 v2, v4, v7
	v_mov_b32_e32 v5, v4
	v_mov_b32_e32 v4, v3
	s_delay_alu instid0(VALU_DEP_3) | instskip(NEXT) | instid1(VALU_DEP_1)
	v_fmac_f32_e32 v2, v3, v6
	v_cvt_f64_f32_e32 v[2:3], v2
	s_delay_alu instid0(VALU_DEP_1) | instskip(NEXT) | instid1(VALU_DEP_1)
	v_mul_f64_e32 v[2:3], s[6:7], v[2:3]
	v_cvt_f32_f64_e32 v2, v[2:3]
	v_mul_f32_e32 v3, v5, v6
	s_delay_alu instid0(VALU_DEP_1) | instskip(SKIP_2) | instid1(VALU_DEP_1)
	v_fma_f32 v3, v4, v7, -v3
	scratch_load_b64 v[7:8], off, off offset:136 th:TH_LOAD_LU ; 8-byte Folded Reload
	v_cvt_f64_f32_e32 v[3:4], v3
	v_mul_f64_e32 v[3:4], s[6:7], v[3:4]
	s_delay_alu instid0(VALU_DEP_1)
	v_cvt_f32_f64_e32 v3, v[3:4]
	global_store_b64 v[0:1], v[2:3], off
	scratch_load_b64 v[3:4], off, off offset:144 th:TH_LOAD_LU ; 8-byte Folded Reload
	s_wait_loadcnt 0x0
	v_mul_f32_e32 v2, v4, v11
	v_mov_b32_e32 v5, v4
	v_mov_b32_e32 v4, v3
	s_delay_alu instid0(VALU_DEP_3) | instskip(NEXT) | instid1(VALU_DEP_1)
	v_fmac_f32_e32 v2, v3, v10
	v_cvt_f64_f32_e32 v[2:3], v2
	s_delay_alu instid0(VALU_DEP_1) | instskip(NEXT) | instid1(VALU_DEP_1)
	v_mul_f64_e32 v[2:3], s[6:7], v[2:3]
	v_cvt_f32_f64_e32 v2, v[2:3]
	v_mul_f32_e32 v3, v5, v10
	s_delay_alu instid0(VALU_DEP_1) | instskip(SKIP_2) | instid1(VALU_DEP_1)
	v_fma_f32 v3, v4, v11, -v3
	scratch_load_b64 v[10:11], off, off offset:128 th:TH_LOAD_LU ; 8-byte Folded Reload
	v_cvt_f64_f32_e32 v[3:4], v3
	v_mul_f64_e32 v[3:4], s[6:7], v[3:4]
	s_delay_alu instid0(VALU_DEP_1)
	v_cvt_f32_f64_e32 v3, v[3:4]
	v_add_co_u32 v4, vcc_lo, v0, s4
	s_wait_alu 0xfffd
	v_add_co_ci_u32_e32 v5, vcc_lo, s5, v1, vcc_lo
	global_store_b64 v[4:5], v[2:3], off
	ds_load_2addr_b64 v[0:3], v226 offset0:48 offset1:156
	s_wait_dscnt 0x0
	v_mul_f32_e32 v6, v8, v1
	v_mov_b32_e32 v9, v8
	v_mov_b32_e32 v8, v7
	s_delay_alu instid0(VALU_DEP_3) | instskip(NEXT) | instid1(VALU_DEP_3)
	v_fmac_f32_e32 v6, v7, v0
	v_mul_f32_e32 v0, v9, v0
	s_delay_alu instid0(VALU_DEP_2) | instskip(NEXT) | instid1(VALU_DEP_2)
	v_cvt_f64_f32_e32 v[6:7], v6
	v_fma_f32 v0, v8, v1, -v0
	s_delay_alu instid0(VALU_DEP_1) | instskip(NEXT) | instid1(VALU_DEP_3)
	v_cvt_f64_f32_e32 v[0:1], v0
	v_mul_f64_e32 v[6:7], s[6:7], v[6:7]
	s_delay_alu instid0(VALU_DEP_2) | instskip(NEXT) | instid1(VALU_DEP_2)
	v_mul_f64_e32 v[0:1], s[6:7], v[0:1]
	v_cvt_f32_f64_e32 v6, v[6:7]
	s_delay_alu instid0(VALU_DEP_2)
	v_cvt_f32_f64_e32 v7, v[0:1]
	v_add_co_u32 v0, vcc_lo, v4, s0
	s_wait_alu 0xfffd
	v_add_co_ci_u32_e32 v1, vcc_lo, s1, v5, vcc_lo
	global_store_b64 v[0:1], v[6:7], off
	ds_load_2addr_b64 v[4:7], v215 offset0:104 offset1:212
	v_add_co_u32 v0, vcc_lo, v0, s4
	s_wait_alu 0xfffd
	v_add_co_ci_u32_e32 v1, vcc_lo, s5, v1, vcc_lo
	s_wait_loadcnt_dscnt 0x0
	v_mul_f32_e32 v8, v11, v5
	s_delay_alu instid0(VALU_DEP_1) | instskip(SKIP_1) | instid1(VALU_DEP_2)
	v_fmac_f32_e32 v8, v10, v4
	v_mul_f32_e32 v4, v11, v4
	v_cvt_f64_f32_e32 v[8:9], v8
	s_delay_alu instid0(VALU_DEP_2) | instskip(NEXT) | instid1(VALU_DEP_1)
	v_fma_f32 v4, v10, v5, -v4
	v_cvt_f64_f32_e32 v[4:5], v4
	s_delay_alu instid0(VALU_DEP_3) | instskip(NEXT) | instid1(VALU_DEP_2)
	v_mul_f64_e32 v[8:9], s[6:7], v[8:9]
	v_mul_f64_e32 v[4:5], s[6:7], v[4:5]
	s_delay_alu instid0(VALU_DEP_2) | instskip(NEXT) | instid1(VALU_DEP_2)
	v_cvt_f32_f64_e32 v8, v[8:9]
	v_cvt_f32_f64_e32 v9, v[4:5]
	global_store_b64 v[0:1], v[8:9], off
	ds_load_2addr_b64 v[8:11], v214 offset0:32 offset1:140
	v_add_co_u32 v0, vcc_lo, v0, s4
	s_wait_alu 0xfffd
	v_add_co_ci_u32_e32 v1, vcc_lo, s5, v1, vcc_lo
	s_wait_dscnt 0x0
	v_mul_f32_e32 v4, v13, v9
	s_delay_alu instid0(VALU_DEP_1) | instskip(NEXT) | instid1(VALU_DEP_1)
	v_fmac_f32_e32 v4, v12, v8
	v_cvt_f64_f32_e32 v[4:5], v4
	s_delay_alu instid0(VALU_DEP_1) | instskip(NEXT) | instid1(VALU_DEP_1)
	v_mul_f64_e32 v[4:5], s[6:7], v[4:5]
	v_cvt_f32_f64_e32 v4, v[4:5]
	v_mul_f32_e32 v5, v13, v8
	s_delay_alu instid0(VALU_DEP_1) | instskip(SKIP_2) | instid1(VALU_DEP_1)
	v_fma_f32 v5, v12, v9, -v5
	scratch_load_b64 v[12:13], off, off offset:48 th:TH_LOAD_LU ; 8-byte Folded Reload
	v_cvt_f64_f32_e32 v[8:9], v5
	v_mul_f64_e32 v[8:9], s[6:7], v[8:9]
	s_delay_alu instid0(VALU_DEP_1)
	v_cvt_f32_f64_e32 v5, v[8:9]
	scratch_load_b64 v[8:9], off, off offset:112 th:TH_LOAD_LU ; 8-byte Folded Reload
	global_store_b64 v[0:1], v[4:5], off
	v_add_co_u32 v0, vcc_lo, v0, s0
	s_wait_alu 0xfffd
	v_add_co_ci_u32_e32 v1, vcc_lo, s1, v1, vcc_lo
	s_wait_loadcnt 0x0
	v_mul_f32_e32 v4, v9, v3
	s_delay_alu instid0(VALU_DEP_1) | instskip(SKIP_1) | instid1(VALU_DEP_2)
	v_fmac_f32_e32 v4, v8, v2
	v_mul_f32_e32 v2, v9, v2
	v_cvt_f64_f32_e32 v[4:5], v4
	s_delay_alu instid0(VALU_DEP_2) | instskip(NEXT) | instid1(VALU_DEP_1)
	v_fma_f32 v2, v8, v3, -v2
	v_cvt_f64_f32_e32 v[2:3], v2
	s_delay_alu instid0(VALU_DEP_3) | instskip(NEXT) | instid1(VALU_DEP_2)
	v_mul_f64_e32 v[4:5], s[6:7], v[4:5]
	v_mul_f64_e32 v[2:3], s[6:7], v[2:3]
	s_delay_alu instid0(VALU_DEP_2) | instskip(NEXT) | instid1(VALU_DEP_2)
	v_cvt_f32_f64_e32 v4, v[4:5]
	v_cvt_f32_f64_e32 v5, v[2:3]
	global_store_b64 v[0:1], v[4:5], off
	scratch_load_b64 v[3:4], off, off offset:104 th:TH_LOAD_LU ; 8-byte Folded Reload
	v_add_co_u32 v0, vcc_lo, v0, s4
	s_wait_alu 0xfffd
	v_add_co_ci_u32_e32 v1, vcc_lo, s5, v1, vcc_lo
	s_wait_loadcnt 0x0
	v_mul_f32_e32 v2, v4, v7
	v_mov_b32_e32 v5, v4
	v_mov_b32_e32 v4, v3
	s_delay_alu instid0(VALU_DEP_3) | instskip(NEXT) | instid1(VALU_DEP_1)
	v_fmac_f32_e32 v2, v3, v6
	v_cvt_f64_f32_e32 v[2:3], v2
	s_delay_alu instid0(VALU_DEP_1) | instskip(NEXT) | instid1(VALU_DEP_1)
	v_mul_f64_e32 v[2:3], s[6:7], v[2:3]
	v_cvt_f32_f64_e32 v2, v[2:3]
	v_mul_f32_e32 v3, v5, v6
	s_delay_alu instid0(VALU_DEP_1) | instskip(SKIP_2) | instid1(VALU_DEP_1)
	v_fma_f32 v3, v4, v7, -v3
	scratch_load_b64 v[7:8], off, off offset:64 th:TH_LOAD_LU ; 8-byte Folded Reload
	v_cvt_f64_f32_e32 v[3:4], v3
	v_mul_f64_e32 v[3:4], s[6:7], v[3:4]
	s_delay_alu instid0(VALU_DEP_1)
	v_cvt_f32_f64_e32 v3, v[3:4]
	global_store_b64 v[0:1], v[2:3], off
	scratch_load_b64 v[3:4], off, off offset:96 th:TH_LOAD_LU ; 8-byte Folded Reload
	s_wait_loadcnt 0x0
	v_mul_f32_e32 v2, v4, v11
	v_mov_b32_e32 v5, v4
	v_mov_b32_e32 v4, v3
	s_delay_alu instid0(VALU_DEP_3) | instskip(NEXT) | instid1(VALU_DEP_1)
	v_fmac_f32_e32 v2, v3, v10
	v_cvt_f64_f32_e32 v[2:3], v2
	s_delay_alu instid0(VALU_DEP_1) | instskip(NEXT) | instid1(VALU_DEP_1)
	v_mul_f64_e32 v[2:3], s[6:7], v[2:3]
	v_cvt_f32_f64_e32 v2, v[2:3]
	v_mul_f32_e32 v3, v5, v10
	s_delay_alu instid0(VALU_DEP_1) | instskip(NEXT) | instid1(VALU_DEP_1)
	v_fma_f32 v3, v4, v11, -v3
	v_cvt_f64_f32_e32 v[3:4], v3
	s_delay_alu instid0(VALU_DEP_1) | instskip(NEXT) | instid1(VALU_DEP_1)
	v_mul_f64_e32 v[3:4], s[6:7], v[3:4]
	v_cvt_f32_f64_e32 v3, v[3:4]
	v_add_co_u32 v4, vcc_lo, v0, s4
	s_wait_alu 0xfffd
	v_add_co_ci_u32_e32 v5, vcc_lo, s5, v1, vcc_lo
	global_store_b64 v[4:5], v[2:3], off
	ds_load_2addr_b64 v[0:3], v234 offset0:136 offset1:244
	s_wait_dscnt 0x0
	v_mul_f32_e32 v6, v8, v1
	v_mov_b32_e32 v9, v8
	v_mov_b32_e32 v8, v7
	s_delay_alu instid0(VALU_DEP_3) | instskip(NEXT) | instid1(VALU_DEP_3)
	v_fmac_f32_e32 v6, v7, v0
	v_mul_f32_e32 v0, v9, v0
	scratch_load_b64 v[9:10], off, off offset:56 th:TH_LOAD_LU ; 8-byte Folded Reload
	v_cvt_f64_f32_e32 v[6:7], v6
	v_fma_f32 v0, v8, v1, -v0
	s_delay_alu instid0(VALU_DEP_1) | instskip(NEXT) | instid1(VALU_DEP_3)
	v_cvt_f64_f32_e32 v[0:1], v0
	v_mul_f64_e32 v[6:7], s[6:7], v[6:7]
	s_delay_alu instid0(VALU_DEP_2) | instskip(NEXT) | instid1(VALU_DEP_2)
	v_mul_f64_e32 v[0:1], s[6:7], v[0:1]
	v_cvt_f32_f64_e32 v6, v[6:7]
	s_delay_alu instid0(VALU_DEP_2)
	v_cvt_f32_f64_e32 v7, v[0:1]
	v_add_co_u32 v0, vcc_lo, v4, s0
	s_wait_alu 0xfffd
	v_add_co_ci_u32_e32 v1, vcc_lo, s1, v5, vcc_lo
	global_store_b64 v[0:1], v[6:7], off
	ds_load_2addr_b64 v[4:7], v233 offset0:64 offset1:172
	v_add_co_u32 v0, vcc_lo, v0, s4
	s_wait_alu 0xfffd
	v_add_co_ci_u32_e32 v1, vcc_lo, s5, v1, vcc_lo
	s_wait_loadcnt_dscnt 0x0
	v_mul_f32_e32 v8, v10, v5
	v_mov_b32_e32 v11, v10
	v_mov_b32_e32 v10, v9
	s_delay_alu instid0(VALU_DEP_3) | instskip(NEXT) | instid1(VALU_DEP_3)
	v_fmac_f32_e32 v8, v9, v4
	v_mul_f32_e32 v4, v11, v4
	s_delay_alu instid0(VALU_DEP_2) | instskip(NEXT) | instid1(VALU_DEP_2)
	v_cvt_f64_f32_e32 v[8:9], v8
	v_fma_f32 v4, v10, v5, -v4
	s_delay_alu instid0(VALU_DEP_1) | instskip(NEXT) | instid1(VALU_DEP_3)
	v_cvt_f64_f32_e32 v[4:5], v4
	v_mul_f64_e32 v[8:9], s[6:7], v[8:9]
	s_delay_alu instid0(VALU_DEP_2) | instskip(NEXT) | instid1(VALU_DEP_2)
	v_mul_f64_e32 v[4:5], s[6:7], v[4:5]
	v_cvt_f32_f64_e32 v8, v[8:9]
	s_delay_alu instid0(VALU_DEP_2)
	v_cvt_f32_f64_e32 v9, v[4:5]
	global_store_b64 v[0:1], v[8:9], off
	ds_load_2addr_b64 v[8:11], v232 offset0:120 offset1:228
	v_add_co_u32 v0, vcc_lo, v0, s4
	s_wait_alu 0xfffd
	v_add_co_ci_u32_e32 v1, vcc_lo, s5, v1, vcc_lo
	s_wait_dscnt 0x0
	v_mul_f32_e32 v4, v13, v9
	s_delay_alu instid0(VALU_DEP_1) | instskip(NEXT) | instid1(VALU_DEP_1)
	v_fmac_f32_e32 v4, v12, v8
	v_cvt_f64_f32_e32 v[4:5], v4
	s_delay_alu instid0(VALU_DEP_1) | instskip(NEXT) | instid1(VALU_DEP_1)
	v_mul_f64_e32 v[4:5], s[6:7], v[4:5]
	v_cvt_f32_f64_e32 v4, v[4:5]
	v_mul_f32_e32 v5, v13, v8
	s_delay_alu instid0(VALU_DEP_1) | instskip(SKIP_2) | instid1(VALU_DEP_1)
	v_fma_f32 v5, v12, v9, -v5
	scratch_load_b64 v[12:13], off, off th:TH_LOAD_LU ; 8-byte Folded Reload
	v_cvt_f64_f32_e32 v[8:9], v5
	v_mul_f64_e32 v[8:9], s[6:7], v[8:9]
	s_delay_alu instid0(VALU_DEP_1)
	v_cvt_f32_f64_e32 v5, v[8:9]
	scratch_load_b64 v[8:9], off, off offset:40 th:TH_LOAD_LU ; 8-byte Folded Reload
	global_store_b64 v[0:1], v[4:5], off
	v_add_co_u32 v0, vcc_lo, v0, s0
	s_wait_alu 0xfffd
	v_add_co_ci_u32_e32 v1, vcc_lo, s1, v1, vcc_lo
	s_wait_loadcnt 0x0
	v_mul_f32_e32 v4, v9, v3
	s_delay_alu instid0(VALU_DEP_1) | instskip(SKIP_1) | instid1(VALU_DEP_2)
	v_fmac_f32_e32 v4, v8, v2
	v_mul_f32_e32 v2, v9, v2
	v_cvt_f64_f32_e32 v[4:5], v4
	s_delay_alu instid0(VALU_DEP_2) | instskip(SKIP_3) | instid1(VALU_DEP_2)
	v_fma_f32 v2, v8, v3, -v2
	scratch_load_b64 v[8:9], off, off offset:16 th:TH_LOAD_LU ; 8-byte Folded Reload
	v_cvt_f64_f32_e32 v[2:3], v2
	v_mul_f64_e32 v[4:5], s[6:7], v[4:5]
	v_mul_f64_e32 v[2:3], s[6:7], v[2:3]
	s_delay_alu instid0(VALU_DEP_2) | instskip(NEXT) | instid1(VALU_DEP_2)
	v_cvt_f32_f64_e32 v4, v[4:5]
	v_cvt_f32_f64_e32 v5, v[2:3]
	global_store_b64 v[0:1], v[4:5], off
	scratch_load_b64 v[4:5], off, off offset:32 th:TH_LOAD_LU ; 8-byte Folded Reload
	v_add_co_u32 v0, vcc_lo, v0, s4
	s_wait_alu 0xfffd
	v_add_co_ci_u32_e32 v1, vcc_lo, s5, v1, vcc_lo
	s_wait_loadcnt 0x0
	v_mul_f32_e32 v2, v5, v7
	s_delay_alu instid0(VALU_DEP_1) | instskip(NEXT) | instid1(VALU_DEP_1)
	v_fmac_f32_e32 v2, v4, v6
	v_cvt_f64_f32_e32 v[2:3], v2
	s_delay_alu instid0(VALU_DEP_1) | instskip(NEXT) | instid1(VALU_DEP_1)
	v_mul_f64_e32 v[2:3], s[6:7], v[2:3]
	v_cvt_f32_f64_e32 v2, v[2:3]
	v_mul_f32_e32 v3, v5, v6
	s_delay_alu instid0(VALU_DEP_1) | instskip(NEXT) | instid1(VALU_DEP_1)
	v_fma_f32 v3, v4, v7, -v3
	v_cvt_f64_f32_e32 v[3:4], v3
	s_delay_alu instid0(VALU_DEP_1) | instskip(NEXT) | instid1(VALU_DEP_1)
	v_mul_f64_e32 v[3:4], s[6:7], v[3:4]
	v_cvt_f32_f64_e32 v3, v[3:4]
	scratch_load_b64 v[4:5], off, off offset:24 th:TH_LOAD_LU ; 8-byte Folded Reload
	global_store_b64 v[0:1], v[2:3], off
	v_add_co_u32 v0, vcc_lo, v0, s4
	s_wait_alu 0xfffd
	v_add_co_ci_u32_e32 v1, vcc_lo, s5, v1, vcc_lo
	s_wait_loadcnt 0x0
	v_mul_f32_e32 v2, v5, v11
	s_delay_alu instid0(VALU_DEP_1) | instskip(NEXT) | instid1(VALU_DEP_1)
	v_fmac_f32_e32 v2, v4, v10
	v_cvt_f64_f32_e32 v[2:3], v2
	s_delay_alu instid0(VALU_DEP_1) | instskip(NEXT) | instid1(VALU_DEP_1)
	v_mul_f64_e32 v[2:3], s[6:7], v[2:3]
	v_cvt_f32_f64_e32 v2, v[2:3]
	v_mul_f32_e32 v3, v5, v10
	s_delay_alu instid0(VALU_DEP_1) | instskip(SKIP_2) | instid1(VALU_DEP_1)
	v_fma_f32 v3, v4, v11, -v3
	scratch_load_b64 v[10:11], off, off offset:8 th:TH_LOAD_LU ; 8-byte Folded Reload
	v_cvt_f64_f32_e32 v[3:4], v3
	v_mul_f64_e32 v[3:4], s[6:7], v[3:4]
	s_delay_alu instid0(VALU_DEP_1)
	v_cvt_f32_f64_e32 v3, v[3:4]
	global_store_b64 v[0:1], v[2:3], off
	ds_load_2addr_b64 v[2:5], v217 offset0:96 offset1:204
	v_add_co_u32 v0, vcc_lo, v0, s0
	s_wait_alu 0xfffd
	v_add_co_ci_u32_e32 v1, vcc_lo, s1, v1, vcc_lo
	s_wait_dscnt 0x0
	v_mul_f32_e32 v6, v9, v3
	s_delay_alu instid0(VALU_DEP_1) | instskip(SKIP_1) | instid1(VALU_DEP_2)
	v_fmac_f32_e32 v6, v8, v2
	v_mul_f32_e32 v2, v9, v2
	v_cvt_f64_f32_e32 v[6:7], v6
	s_delay_alu instid0(VALU_DEP_2) | instskip(NEXT) | instid1(VALU_DEP_1)
	v_fma_f32 v2, v8, v3, -v2
	v_cvt_f64_f32_e32 v[2:3], v2
	s_delay_alu instid0(VALU_DEP_3) | instskip(NEXT) | instid1(VALU_DEP_2)
	v_mul_f64_e32 v[6:7], s[6:7], v[6:7]
	v_mul_f64_e32 v[2:3], s[6:7], v[2:3]
	s_delay_alu instid0(VALU_DEP_2) | instskip(NEXT) | instid1(VALU_DEP_2)
	v_cvt_f32_f64_e32 v6, v[6:7]
	v_cvt_f32_f64_e32 v7, v[2:3]
	global_store_b64 v[0:1], v[6:7], off
	ds_load_2addr_b64 v[6:9], v216 offset0:24 offset1:132
	s_wait_loadcnt_dscnt 0x0
	v_mul_f32_e32 v2, v11, v7
	s_delay_alu instid0(VALU_DEP_1) | instskip(NEXT) | instid1(VALU_DEP_1)
	v_fmac_f32_e32 v2, v10, v6
	v_cvt_f64_f32_e32 v[2:3], v2
	s_delay_alu instid0(VALU_DEP_1) | instskip(NEXT) | instid1(VALU_DEP_1)
	v_mul_f64_e32 v[2:3], s[6:7], v[2:3]
	v_cvt_f32_f64_e32 v2, v[2:3]
	v_mul_f32_e32 v3, v11, v6
	s_delay_alu instid0(VALU_DEP_1) | instskip(NEXT) | instid1(VALU_DEP_1)
	v_fma_f32 v3, v10, v7, -v3
	v_cvt_f64_f32_e32 v[6:7], v3
	s_delay_alu instid0(VALU_DEP_1) | instskip(NEXT) | instid1(VALU_DEP_1)
	v_mul_f64_e32 v[6:7], s[6:7], v[6:7]
	v_cvt_f32_f64_e32 v3, v[6:7]
	v_add_co_u32 v6, vcc_lo, v0, s4
	s_wait_alu 0xfffd
	v_add_co_ci_u32_e32 v7, vcc_lo, s5, v1, vcc_lo
	global_store_b64 v[6:7], v[2:3], off
	ds_load_2addr_b64 v[0:3], v196 offset0:80 offset1:188
	s_wait_dscnt 0x0
	v_mul_f32_e32 v10, v13, v1
	s_delay_alu instid0(VALU_DEP_1) | instskip(SKIP_1) | instid1(VALU_DEP_2)
	v_fmac_f32_e32 v10, v12, v0
	v_mul_f32_e32 v0, v13, v0
	v_cvt_f64_f32_e32 v[10:11], v10
	s_delay_alu instid0(VALU_DEP_2) | instskip(NEXT) | instid1(VALU_DEP_1)
	v_fma_f32 v0, v12, v1, -v0
	v_cvt_f64_f32_e32 v[0:1], v0
	s_delay_alu instid0(VALU_DEP_3) | instskip(NEXT) | instid1(VALU_DEP_2)
	v_mul_f64_e32 v[10:11], s[6:7], v[10:11]
	v_mul_f64_e32 v[0:1], s[6:7], v[0:1]
	s_delay_alu instid0(VALU_DEP_2) | instskip(NEXT) | instid1(VALU_DEP_2)
	v_cvt_f32_f64_e32 v10, v[10:11]
	v_cvt_f32_f64_e32 v11, v[0:1]
	v_add_co_u32 v0, vcc_lo, v6, s4
	s_wait_alu 0xfffd
	v_add_co_ci_u32_e32 v1, vcc_lo, s5, v7, vcc_lo
	global_store_b64 v[0:1], v[10:11], off
	scratch_load_b64 v[10:11], off, off offset:72 th:TH_LOAD_LU ; 8-byte Folded Reload
	v_add_co_u32 v0, vcc_lo, v0, s0
	s_wait_alu 0xfffd
	v_add_co_ci_u32_e32 v1, vcc_lo, s1, v1, vcc_lo
	s_wait_loadcnt 0x0
	v_mul_f32_e32 v6, v11, v5
	s_delay_alu instid0(VALU_DEP_1) | instskip(SKIP_1) | instid1(VALU_DEP_2)
	v_fmac_f32_e32 v6, v10, v4
	v_mul_f32_e32 v4, v11, v4
	v_cvt_f64_f32_e32 v[6:7], v6
	s_delay_alu instid0(VALU_DEP_2) | instskip(NEXT) | instid1(VALU_DEP_1)
	v_fma_f32 v4, v10, v5, -v4
	v_cvt_f64_f32_e32 v[4:5], v4
	s_delay_alu instid0(VALU_DEP_3) | instskip(NEXT) | instid1(VALU_DEP_2)
	v_mul_f64_e32 v[6:7], s[6:7], v[6:7]
	v_mul_f64_e32 v[4:5], s[6:7], v[4:5]
	s_delay_alu instid0(VALU_DEP_2) | instskip(NEXT) | instid1(VALU_DEP_2)
	v_cvt_f32_f64_e32 v6, v[6:7]
	v_cvt_f32_f64_e32 v7, v[4:5]
	global_store_b64 v[0:1], v[6:7], off
	scratch_load_b64 v[5:6], off, off offset:88 th:TH_LOAD_LU ; 8-byte Folded Reload
	v_add_co_u32 v0, vcc_lo, v0, s4
	s_wait_alu 0xfffd
	v_add_co_ci_u32_e32 v1, vcc_lo, s5, v1, vcc_lo
	s_wait_loadcnt 0x0
	v_mul_f32_e32 v4, v6, v9
	v_mov_b32_e32 v7, v6
	v_mov_b32_e32 v6, v5
	s_delay_alu instid0(VALU_DEP_3) | instskip(NEXT) | instid1(VALU_DEP_1)
	v_fmac_f32_e32 v4, v5, v8
	v_cvt_f64_f32_e32 v[4:5], v4
	s_delay_alu instid0(VALU_DEP_1) | instskip(NEXT) | instid1(VALU_DEP_1)
	v_mul_f64_e32 v[4:5], s[6:7], v[4:5]
	v_cvt_f32_f64_e32 v4, v[4:5]
	v_mul_f32_e32 v5, v7, v8
	s_delay_alu instid0(VALU_DEP_1) | instskip(NEXT) | instid1(VALU_DEP_1)
	v_fma_f32 v5, v6, v9, -v5
	v_cvt_f64_f32_e32 v[5:6], v5
	s_delay_alu instid0(VALU_DEP_1) | instskip(NEXT) | instid1(VALU_DEP_1)
	v_mul_f64_e32 v[5:6], s[6:7], v[5:6]
	v_cvt_f32_f64_e32 v5, v[5:6]
	global_store_b64 v[0:1], v[4:5], off
	scratch_load_b64 v[5:6], off, off offset:80 th:TH_LOAD_LU ; 8-byte Folded Reload
	v_add_co_u32 v0, vcc_lo, v0, s4
	s_wait_alu 0xfffd
	v_add_co_ci_u32_e32 v1, vcc_lo, s5, v1, vcc_lo
	s_wait_loadcnt 0x0
	v_mul_f32_e32 v4, v6, v3
	v_mov_b32_e32 v7, v6
	v_mov_b32_e32 v6, v5
	s_delay_alu instid0(VALU_DEP_3) | instskip(NEXT) | instid1(VALU_DEP_3)
	v_fmac_f32_e32 v4, v5, v2
	v_mul_f32_e32 v2, v7, v2
	s_delay_alu instid0(VALU_DEP_2) | instskip(NEXT) | instid1(VALU_DEP_2)
	v_cvt_f64_f32_e32 v[4:5], v4
	v_fma_f32 v2, v6, v3, -v2
	s_delay_alu instid0(VALU_DEP_1) | instskip(NEXT) | instid1(VALU_DEP_3)
	v_cvt_f64_f32_e32 v[2:3], v2
	v_mul_f64_e32 v[4:5], s[6:7], v[4:5]
	s_delay_alu instid0(VALU_DEP_2) | instskip(NEXT) | instid1(VALU_DEP_2)
	v_mul_f64_e32 v[2:3], s[6:7], v[2:3]
	v_cvt_f32_f64_e32 v4, v[4:5]
	s_delay_alu instid0(VALU_DEP_2)
	v_cvt_f32_f64_e32 v5, v[2:3]
	global_store_b64 v[0:1], v[4:5], off
.LBB0_2:
	s_nop 0
	s_sendmsg sendmsg(MSG_DEALLOC_VGPRS)
	s_endpgm
	.section	.rodata,"a",@progbits
	.p2align	6, 0x0
	.amdhsa_kernel bluestein_single_fwd_len3240_dim1_sp_op_CI_CI
		.amdhsa_group_segment_fixed_size 25920
		.amdhsa_private_segment_fixed_size 520
		.amdhsa_kernarg_size 104
		.amdhsa_user_sgpr_count 2
		.amdhsa_user_sgpr_dispatch_ptr 0
		.amdhsa_user_sgpr_queue_ptr 0
		.amdhsa_user_sgpr_kernarg_segment_ptr 1
		.amdhsa_user_sgpr_dispatch_id 0
		.amdhsa_user_sgpr_private_segment_size 0
		.amdhsa_wavefront_size32 1
		.amdhsa_uses_dynamic_stack 0
		.amdhsa_enable_private_segment 1
		.amdhsa_system_sgpr_workgroup_id_x 1
		.amdhsa_system_sgpr_workgroup_id_y 0
		.amdhsa_system_sgpr_workgroup_id_z 0
		.amdhsa_system_sgpr_workgroup_info 0
		.amdhsa_system_vgpr_workitem_id 0
		.amdhsa_next_free_vgpr 256
		.amdhsa_next_free_sgpr 16
		.amdhsa_reserve_vcc 1
		.amdhsa_float_round_mode_32 0
		.amdhsa_float_round_mode_16_64 0
		.amdhsa_float_denorm_mode_32 3
		.amdhsa_float_denorm_mode_16_64 3
		.amdhsa_fp16_overflow 0
		.amdhsa_workgroup_processor_mode 1
		.amdhsa_memory_ordered 1
		.amdhsa_forward_progress 0
		.amdhsa_round_robin_scheduling 0
		.amdhsa_exception_fp_ieee_invalid_op 0
		.amdhsa_exception_fp_denorm_src 0
		.amdhsa_exception_fp_ieee_div_zero 0
		.amdhsa_exception_fp_ieee_overflow 0
		.amdhsa_exception_fp_ieee_underflow 0
		.amdhsa_exception_fp_ieee_inexact 0
		.amdhsa_exception_int_div_zero 0
	.end_amdhsa_kernel
	.text
.Lfunc_end0:
	.size	bluestein_single_fwd_len3240_dim1_sp_op_CI_CI, .Lfunc_end0-bluestein_single_fwd_len3240_dim1_sp_op_CI_CI
                                        ; -- End function
	.section	.AMDGPU.csdata,"",@progbits
; Kernel info:
; codeLenInByte = 35680
; NumSgprs: 18
; NumVgprs: 256
; ScratchSize: 520
; MemoryBound: 0
; FloatMode: 240
; IeeeMode: 1
; LDSByteSize: 25920 bytes/workgroup (compile time only)
; SGPRBlocks: 2
; VGPRBlocks: 31
; NumSGPRsForWavesPerEU: 18
; NumVGPRsForWavesPerEU: 256
; Occupancy: 5
; WaveLimiterHint : 1
; COMPUTE_PGM_RSRC2:SCRATCH_EN: 1
; COMPUTE_PGM_RSRC2:USER_SGPR: 2
; COMPUTE_PGM_RSRC2:TRAP_HANDLER: 0
; COMPUTE_PGM_RSRC2:TGID_X_EN: 1
; COMPUTE_PGM_RSRC2:TGID_Y_EN: 0
; COMPUTE_PGM_RSRC2:TGID_Z_EN: 0
; COMPUTE_PGM_RSRC2:TIDIG_COMP_CNT: 0
	.text
	.p2alignl 7, 3214868480
	.fill 96, 4, 3214868480
	.type	__hip_cuid_3c043de27c0f8971,@object ; @__hip_cuid_3c043de27c0f8971
	.section	.bss,"aw",@nobits
	.globl	__hip_cuid_3c043de27c0f8971
__hip_cuid_3c043de27c0f8971:
	.byte	0                               ; 0x0
	.size	__hip_cuid_3c043de27c0f8971, 1

	.ident	"AMD clang version 19.0.0git (https://github.com/RadeonOpenCompute/llvm-project roc-6.4.0 25133 c7fe45cf4b819c5991fe208aaa96edf142730f1d)"
	.section	".note.GNU-stack","",@progbits
	.addrsig
	.addrsig_sym __hip_cuid_3c043de27c0f8971
	.amdgpu_metadata
---
amdhsa.kernels:
  - .args:
      - .actual_access:  read_only
        .address_space:  global
        .offset:         0
        .size:           8
        .value_kind:     global_buffer
      - .actual_access:  read_only
        .address_space:  global
        .offset:         8
        .size:           8
        .value_kind:     global_buffer
      - .actual_access:  read_only
        .address_space:  global
        .offset:         16
        .size:           8
        .value_kind:     global_buffer
      - .actual_access:  read_only
        .address_space:  global
        .offset:         24
        .size:           8
        .value_kind:     global_buffer
      - .actual_access:  read_only
        .address_space:  global
        .offset:         32
        .size:           8
        .value_kind:     global_buffer
      - .offset:         40
        .size:           8
        .value_kind:     by_value
      - .address_space:  global
        .offset:         48
        .size:           8
        .value_kind:     global_buffer
      - .address_space:  global
        .offset:         56
        .size:           8
        .value_kind:     global_buffer
      - .address_space:  global
        .offset:         64
        .size:           8
        .value_kind:     global_buffer
      - .address_space:  global
        .offset:         72
        .size:           8
        .value_kind:     global_buffer
      - .offset:         80
        .size:           4
        .value_kind:     by_value
      - .address_space:  global
        .offset:         88
        .size:           8
        .value_kind:     global_buffer
      - .address_space:  global
        .offset:         96
        .size:           8
        .value_kind:     global_buffer
    .group_segment_fixed_size: 25920
    .kernarg_segment_align: 8
    .kernarg_segment_size: 104
    .language:       OpenCL C
    .language_version:
      - 2
      - 0
    .max_flat_workgroup_size: 108
    .name:           bluestein_single_fwd_len3240_dim1_sp_op_CI_CI
    .private_segment_fixed_size: 520
    .sgpr_count:     18
    .sgpr_spill_count: 0
    .symbol:         bluestein_single_fwd_len3240_dim1_sp_op_CI_CI.kd
    .uniform_work_group_size: 1
    .uses_dynamic_stack: false
    .vgpr_count:     256
    .vgpr_spill_count: 129
    .wavefront_size: 32
    .workgroup_processor_mode: 1
amdhsa.target:   amdgcn-amd-amdhsa--gfx1201
amdhsa.version:
  - 1
  - 2
...

	.end_amdgpu_metadata
